;; amdgpu-corpus repo=ROCm/rocFFT kind=compiled arch=gfx1030 opt=O3
	.text
	.amdgcn_target "amdgcn-amd-amdhsa--gfx1030"
	.amdhsa_code_object_version 6
	.protected	bluestein_single_back_len510_dim1_half_op_CI_CI ; -- Begin function bluestein_single_back_len510_dim1_half_op_CI_CI
	.globl	bluestein_single_back_len510_dim1_half_op_CI_CI
	.p2align	8
	.type	bluestein_single_back_len510_dim1_half_op_CI_CI,@function
bluestein_single_back_len510_dim1_half_op_CI_CI: ; @bluestein_single_back_len510_dim1_half_op_CI_CI
; %bb.0:
	s_load_dwordx4 s[0:3], s[4:5], 0x28
	v_mul_u32_u24_e32 v1, 0x788, v0
	v_lshrrev_b32_e32 v1, 16, v1
	v_mad_u64_u32 v[12:13], null, s6, 7, v[1:2]
	v_mov_b32_e32 v13, 0
                                        ; kill: def $vgpr2 killed $sgpr0 killed $exec
	s_waitcnt lgkmcnt(0)
	v_cmp_gt_u64_e32 vcc_lo, s[0:1], v[12:13]
	s_and_saveexec_b32 s0, vcc_lo
	s_cbranch_execz .LBB0_23
; %bb.1:
	v_mul_hi_u32 v2, 0x24924925, v12
	v_mul_lo_u16 v1, v1, 34
	s_clause 0x1
	s_load_dwordx2 s[12:13], s[4:5], 0x0
	s_load_dwordx2 s[14:15], s[4:5], 0x38
	v_sub_nc_u16 v0, v0, v1
	v_sub_nc_u32_e32 v3, v12, v2
	v_and_b32_e32 v41, 0xffff, v0
	v_cmp_gt_u16_e32 vcc_lo, 30, v0
	v_lshrrev_b32_e32 v3, 1, v3
	v_lshlrev_b32_e32 v40, 2, v41
	v_or_b32_e32 v39, 0x1e0, v41
	v_add_nc_u32_e32 v2, v3, v2
	v_lshrrev_b32_e32 v2, 2, v2
	v_mul_lo_u32 v2, v2, 7
	v_sub_nc_u32_e32 v1, v12, v2
	v_mul_u32_u24_e32 v23, 0x1fe, v1
	v_lshlrev_b32_e32 v42, 2, v23
	s_and_saveexec_b32 s1, vcc_lo
	s_cbranch_execz .LBB0_3
; %bb.2:
	s_load_dwordx2 s[6:7], s[4:5], 0x18
	v_lshl_add_u32 v37, v41, 2, v42
	v_add_nc_u32_e32 v36, v42, v40
	v_add_nc_u32_e32 v44, 0x400, v36
	s_waitcnt lgkmcnt(0)
	s_load_dwordx4 s[8:11], s[6:7], 0x0
	s_clause 0x1
	global_load_dword v10, v40, s[12:13]
	global_load_dword v11, v40, s[12:13] offset:120
	s_waitcnt lgkmcnt(0)
	v_mad_u64_u32 v[0:1], null, s10, v12, 0
	v_mad_u64_u32 v[2:3], null, s8, v41, 0
	;; [unrolled: 1-line block ×3, first 2 shown]
	s_mul_i32 s0, s9, 0x78
	s_mul_hi_u32 s6, s8, 0x78
	s_mul_i32 s7, s8, 0x78
	s_add_i32 s6, s6, s0
	v_mad_u64_u32 v[6:7], null, s11, v12, v[1:2]
	v_mov_b32_e32 v1, v5
	v_mad_u64_u32 v[7:8], null, s9, v41, v[3:4]
	v_mad_u64_u32 v[8:9], null, s9, v39, v[1:2]
	v_mov_b32_e32 v1, v6
	global_load_dword v6, v40, s[12:13] offset:1920
	v_mov_b32_e32 v3, v7
	v_lshlrev_b64 v[0:1], 2, v[0:1]
	v_mov_b32_e32 v5, v8
	v_lshlrev_b64 v[2:3], 2, v[2:3]
	v_add_co_u32 v7, s0, s2, v0
	v_add_co_ci_u32_e64 v8, s0, s3, v1, s0
	v_lshlrev_b64 v[0:1], 2, v[4:5]
	v_add_co_u32 v2, s0, v7, v2
	v_add_co_ci_u32_e64 v3, s0, v8, v3, s0
	v_add_co_u32 v0, s0, v7, v0
	v_add_co_ci_u32_e64 v1, s0, v8, v1, s0
	s_clause 0x1
	global_load_dword v4, v[2:3], off
	global_load_dword v5, v[0:1], off
	v_add_co_u32 v2, s0, v2, s7
	v_add_co_ci_u32_e64 v3, s0, s6, v3, s0
	v_add_co_u32 v0, s0, v2, s7
	v_add_co_ci_u32_e64 v1, s0, s6, v3, s0
	global_load_dword v7, v[2:3], off
	v_add_co_u32 v2, s0, v0, s7
	v_add_co_ci_u32_e64 v3, s0, s6, v1, s0
	global_load_dword v8, v[0:1], off
	global_load_dword v9, v40, s[12:13] offset:240
	global_load_dword v13, v[2:3], off
	v_add_co_u32 v0, s0, v2, s7
	v_add_co_ci_u32_e64 v1, s0, s6, v3, s0
	s_clause 0x1
	global_load_dword v14, v40, s[12:13] offset:360
	global_load_dword v15, v40, s[12:13] offset:480
	v_add_co_u32 v2, s0, v0, s7
	v_add_co_ci_u32_e64 v3, s0, s6, v1, s0
	global_load_dword v16, v[0:1], off
	v_add_co_u32 v0, s0, v2, s7
	v_add_co_ci_u32_e64 v1, s0, s6, v3, s0
	global_load_dword v17, v[2:3], off
	s_clause 0x2
	global_load_dword v18, v40, s[12:13] offset:600
	global_load_dword v19, v40, s[12:13] offset:720
	;; [unrolled: 1-line block ×3, first 2 shown]
	global_load_dword v21, v[0:1], off
	v_add_co_u32 v0, s0, v0, s7
	v_add_co_ci_u32_e64 v1, s0, s6, v1, s0
	global_load_dword v22, v40, s[12:13] offset:960
	v_add_co_u32 v2, s0, v0, s7
	v_add_co_ci_u32_e64 v3, s0, s6, v1, s0
	global_load_dword v24, v[0:1], off
	v_add_co_u32 v0, s0, v2, s7
	v_add_co_ci_u32_e64 v1, s0, s6, v3, s0
	global_load_dword v25, v[2:3], off
	v_add_co_u32 v2, s0, v0, s7
	v_add_co_ci_u32_e64 v3, s0, s6, v1, s0
	global_load_dword v26, v40, s[12:13] offset:1080
	global_load_dword v27, v[0:1], off
	global_load_dword v28, v[2:3], off
	v_add_co_u32 v0, s0, v2, s7
	v_add_co_ci_u32_e64 v1, s0, s6, v3, s0
	s_clause 0x2
	global_load_dword v29, v40, s[12:13] offset:1200
	global_load_dword v30, v40, s[12:13] offset:1320
	;; [unrolled: 1-line block ×3, first 2 shown]
	v_add_co_u32 v2, s0, v0, s7
	v_add_co_ci_u32_e64 v3, s0, s6, v1, s0
	global_load_dword v32, v[0:1], off
	v_add_co_u32 v0, s0, v2, s7
	v_add_co_ci_u32_e64 v1, s0, s6, v3, s0
	global_load_dword v33, v[2:3], off
	;; [unrolled: 3-line block ×3, first 2 shown]
	v_add_co_u32 v0, s0, v2, s7
	v_add_co_ci_u32_e64 v1, s0, s6, v3, s0
	global_load_dword v35, v40, s[12:13] offset:1560
	global_load_dword v2, v[2:3], off
	global_load_dword v0, v[0:1], off
	s_clause 0x1
	global_load_dword v1, v40, s[12:13] offset:1680
	global_load_dword v3, v40, s[12:13] offset:1800
	s_waitcnt vmcnt(30)
	v_lshrrev_b32_e32 v38, 16, v4
	v_mul_f16_sdwa v43, v10, v4 dst_sel:DWORD dst_unused:UNUSED_PAD src0_sel:WORD_1 src1_sel:DWORD
	s_waitcnt vmcnt(29)
	v_lshrrev_b32_e32 v45, 16, v5
	v_mul_f16_sdwa v46, v6, v5 dst_sel:DWORD dst_unused:UNUSED_PAD src0_sel:WORD_1 src1_sel:DWORD
	v_mul_f16_sdwa v47, v10, v38 dst_sel:DWORD dst_unused:UNUSED_PAD src0_sel:WORD_1 src1_sel:DWORD
	v_fma_f16 v38, v10, v38, -v43
	v_mul_f16_sdwa v49, v6, v45 dst_sel:DWORD dst_unused:UNUSED_PAD src0_sel:WORD_1 src1_sel:DWORD
	v_fma_f16 v45, v6, v45, -v46
	v_fmac_f16_e32 v47, v10, v4
	s_waitcnt vmcnt(28)
	v_lshrrev_b32_e32 v43, 16, v7
	v_mul_f16_sdwa v48, v11, v7 dst_sel:DWORD dst_unused:UNUSED_PAD src0_sel:WORD_1 src1_sel:DWORD
	v_fmac_f16_e32 v49, v6, v5
	v_pack_b32_f16 v5, v47, v38
	v_mul_f16_sdwa v4, v11, v43 dst_sel:DWORD dst_unused:UNUSED_PAD src0_sel:WORD_1 src1_sel:DWORD
	v_fma_f16 v10, v11, v43, -v48
	s_waitcnt vmcnt(27)
	v_lshrrev_b32_e32 v43, 16, v8
	s_waitcnt vmcnt(26)
	v_mul_f16_sdwa v46, v9, v8 dst_sel:DWORD dst_unused:UNUSED_PAD src0_sel:WORD_1 src1_sel:DWORD
	ds_write_b32 v37, v5
	v_fmac_f16_e32 v4, v11, v7
	s_waitcnt vmcnt(25)
	v_lshrrev_b32_e32 v11, 16, v13
	v_mul_f16_sdwa v6, v9, v43 dst_sel:DWORD dst_unused:UNUSED_PAD src0_sel:WORD_1 src1_sel:DWORD
	v_fma_f16 v7, v9, v43, -v46
	s_waitcnt vmcnt(24)
	v_mul_f16_sdwa v38, v14, v13 dst_sel:DWORD dst_unused:UNUSED_PAD src0_sel:WORD_1 src1_sel:DWORD
	v_pack_b32_f16 v4, v4, v10
	v_mul_f16_sdwa v5, v14, v11 dst_sel:DWORD dst_unused:UNUSED_PAD src0_sel:WORD_1 src1_sel:DWORD
	v_fmac_f16_e32 v6, v9, v8
	s_waitcnt vmcnt(22)
	v_lshrrev_b32_e32 v8, 16, v16
	v_mul_f16_sdwa v9, v15, v16 dst_sel:DWORD dst_unused:UNUSED_PAD src0_sel:WORD_1 src1_sel:DWORD
	v_fma_f16 v10, v14, v11, -v38
	v_fmac_f16_e32 v5, v14, v13
	v_pack_b32_f16 v6, v6, v7
	v_mul_f16_sdwa v7, v15, v8 dst_sel:DWORD dst_unused:UNUSED_PAD src0_sel:WORD_1 src1_sel:DWORD
	v_fma_f16 v8, v15, v8, -v9
	s_waitcnt vmcnt(21)
	v_lshrrev_b32_e32 v9, 16, v17
	s_waitcnt vmcnt(20)
	v_mul_f16_sdwa v11, v18, v17 dst_sel:DWORD dst_unused:UNUSED_PAD src0_sel:WORD_1 src1_sel:DWORD
	ds_write2_b32 v36, v4, v6 offset0:30 offset1:60
	v_pack_b32_f16 v4, v5, v10
	v_fmac_f16_e32 v7, v15, v16
	v_mul_f16_sdwa v5, v18, v9 dst_sel:DWORD dst_unused:UNUSED_PAD src0_sel:WORD_1 src1_sel:DWORD
	s_waitcnt vmcnt(17)
	v_lshrrev_b32_e32 v6, 16, v21
	v_mul_f16_sdwa v10, v19, v21 dst_sel:DWORD dst_unused:UNUSED_PAD src0_sel:WORD_1 src1_sel:DWORD
	v_fma_f16 v9, v18, v9, -v11
	v_pack_b32_f16 v7, v7, v8
	v_fmac_f16_e32 v5, v18, v17
	v_mul_f16_sdwa v8, v19, v6 dst_sel:DWORD dst_unused:UNUSED_PAD src0_sel:WORD_1 src1_sel:DWORD
	v_fma_f16 v6, v19, v6, -v10
	s_waitcnt vmcnt(15)
	v_lshrrev_b32_e32 v10, 16, v24
	v_mul_f16_sdwa v11, v20, v24 dst_sel:DWORD dst_unused:UNUSED_PAD src0_sel:WORD_1 src1_sel:DWORD
	ds_write2_b32 v36, v4, v7 offset0:90 offset1:120
	v_pack_b32_f16 v4, v5, v9
	v_fmac_f16_e32 v8, v19, v21
	v_mul_f16_sdwa v5, v20, v10 dst_sel:DWORD dst_unused:UNUSED_PAD src0_sel:WORD_1 src1_sel:DWORD
	s_waitcnt vmcnt(14)
	v_lshrrev_b32_e32 v7, 16, v25
	v_mul_f16_sdwa v9, v22, v25 dst_sel:DWORD dst_unused:UNUSED_PAD src0_sel:WORD_1 src1_sel:DWORD
	v_fma_f16 v10, v20, v10, -v11
	v_pack_b32_f16 v6, v8, v6
	v_fmac_f16_e32 v5, v20, v24
	v_mul_f16_sdwa v8, v22, v7 dst_sel:DWORD dst_unused:UNUSED_PAD src0_sel:WORD_1 src1_sel:DWORD
	v_fma_f16 v7, v22, v7, -v9
	s_waitcnt vmcnt(12)
	v_lshrrev_b32_e32 v9, 16, v27
	v_mul_f16_sdwa v11, v26, v27 dst_sel:DWORD dst_unused:UNUSED_PAD src0_sel:WORD_1 src1_sel:DWORD
	ds_write2_b32 v36, v4, v6 offset0:150 offset1:180
	v_pack_b32_f16 v4, v5, v10
	v_fmac_f16_e32 v8, v22, v25
	v_mul_f16_sdwa v5, v26, v9 dst_sel:DWORD dst_unused:UNUSED_PAD src0_sel:WORD_1 src1_sel:DWORD
	s_waitcnt vmcnt(11)
	v_lshrrev_b32_e32 v6, 16, v28
	s_waitcnt vmcnt(10)
	v_mul_f16_sdwa v10, v29, v28 dst_sel:DWORD dst_unused:UNUSED_PAD src0_sel:WORD_1 src1_sel:DWORD
	v_fma_f16 v9, v26, v9, -v11
	v_pack_b32_f16 v7, v8, v7
	v_fmac_f16_e32 v5, v26, v27
	v_mul_f16_sdwa v8, v29, v6 dst_sel:DWORD dst_unused:UNUSED_PAD src0_sel:WORD_1 src1_sel:DWORD
	v_fma_f16 v6, v29, v6, -v10
	s_waitcnt vmcnt(7)
	v_lshrrev_b32_e32 v10, 16, v32
	v_mul_f16_sdwa v11, v30, v32 dst_sel:DWORD dst_unused:UNUSED_PAD src0_sel:WORD_1 src1_sel:DWORD
	ds_write2_b32 v36, v4, v7 offset0:210 offset1:240
	v_pack_b32_f16 v4, v5, v9
	v_fmac_f16_e32 v8, v29, v28
	s_waitcnt vmcnt(6)
	v_lshrrev_b32_e32 v5, 16, v33
	v_mul_f16_sdwa v7, v30, v10 dst_sel:DWORD dst_unused:UNUSED_PAD src0_sel:WORD_1 src1_sel:DWORD
	v_fma_f16 v9, v30, v10, -v11
	v_mul_f16_sdwa v10, v31, v33 dst_sel:DWORD dst_unused:UNUSED_PAD src0_sel:WORD_1 src1_sel:DWORD
	v_pack_b32_f16 v6, v8, v6
	v_mul_f16_sdwa v8, v31, v5 dst_sel:DWORD dst_unused:UNUSED_PAD src0_sel:WORD_1 src1_sel:DWORD
	s_waitcnt vmcnt(5)
	v_lshrrev_b32_e32 v11, 16, v34
	s_waitcnt vmcnt(3)
	v_lshrrev_b32_e32 v13, 16, v2
	v_fma_f16 v5, v31, v5, -v10
	v_mul_f16_sdwa v10, v35, v34 dst_sel:DWORD dst_unused:UNUSED_PAD src0_sel:WORD_1 src1_sel:DWORD
	s_waitcnt vmcnt(2)
	v_lshrrev_b32_e32 v15, 16, v0
	v_mul_f16_sdwa v14, v35, v11 dst_sel:DWORD dst_unused:UNUSED_PAD src0_sel:WORD_1 src1_sel:DWORD
	s_waitcnt vmcnt(1)
	v_mul_f16_sdwa v16, v1, v13 dst_sel:DWORD dst_unused:UNUSED_PAD src0_sel:WORD_1 src1_sel:DWORD
	s_waitcnt vmcnt(0)
	v_mul_f16_sdwa v17, v3, v0 dst_sel:DWORD dst_unused:UNUSED_PAD src0_sel:WORD_1 src1_sel:DWORD
	v_fma_f16 v10, v35, v11, -v10
	v_mul_f16_sdwa v11, v1, v2 dst_sel:DWORD dst_unused:UNUSED_PAD src0_sel:WORD_1 src1_sel:DWORD
	v_mul_f16_sdwa v18, v3, v15 dst_sel:DWORD dst_unused:UNUSED_PAD src0_sel:WORD_1 src1_sel:DWORD
	v_fmac_f16_e32 v7, v30, v32
	v_fmac_f16_e32 v8, v31, v33
	;; [unrolled: 1-line block ×3, first 2 shown]
	v_fma_f16 v11, v1, v13, -v11
	v_fmac_f16_e32 v16, v1, v2
	v_fma_f16 v1, v3, v15, -v17
	v_fmac_f16_e32 v18, v3, v0
	v_pack_b32_f16 v0, v7, v9
	v_pack_b32_f16 v2, v8, v5
	v_pack_b32_f16 v3, v14, v10
	v_pack_b32_f16 v5, v16, v11
	v_pack_b32_f16 v1, v18, v1
	v_pack_b32_f16 v7, v49, v45
	ds_write2_b32 v44, v4, v6 offset0:14 offset1:44
	ds_write2_b32 v44, v0, v2 offset0:74 offset1:104
	;; [unrolled: 1-line block ×4, first 2 shown]
.LBB0_3:
	s_or_b32 exec_lo, exec_lo, s1
	v_mov_b32_e32 v6, 0
	s_waitcnt lgkmcnt(0)
	s_barrier
	buffer_gl0_inv
                                        ; implicit-def: $vgpr21
                                        ; implicit-def: $vgpr3
                                        ; implicit-def: $vgpr5
                                        ; implicit-def: $vgpr9
                                        ; implicit-def: $vgpr11
                                        ; implicit-def: $vgpr16
                                        ; implicit-def: $vgpr18
                                        ; implicit-def: $vgpr20
                                        ; implicit-def: $vgpr49
	s_and_saveexec_b32 s0, vcc_lo
	s_cbranch_execz .LBB0_5
; %bb.4:
	v_lshl_add_u32 v0, v23, 2, v40
	ds_read2_b32 v[6:7], v0 offset1:30
	v_add_nc_u32_e32 v1, 0x200, v0
	v_add_nc_u32_e32 v2, 0x400, v0
	ds_read2_b32 v[19:20], v0 offset0:60 offset1:90
	ds_read2_b32 v[17:18], v0 offset0:120 offset1:150
	;; [unrolled: 1-line block ×7, first 2 shown]
	ds_read_b32 v21, v0 offset:1920
	s_waitcnt lgkmcnt(7)
	v_alignbit_b32 v49, v19, v19, 16
.LBB0_5:
	s_or_b32 exec_lo, exec_lo, s0
	s_waitcnt lgkmcnt(0)
	v_pk_add_f16 v19, v7, v21 neg_lo:[0,1] neg_hi:[0,1]
	v_mov_b32_e32 v105, 0xb5c8
	v_pk_add_f16 v25, v21, v7
	v_pk_add_f16 v22, v3, v49 op_sel:[1,0] op_sel_hi:[0,1]
	v_pk_add_f16 v26, v49, v3 op_sel:[1,0] op_sel_hi:[0,1] neg_lo:[0,1] neg_hi:[0,1]
	v_mov_b32_e32 v109, 0xb964
	v_mul_f16_sdwa v33, v19, v105 dst_sel:DWORD dst_unused:UNUSED_PAD src0_sel:WORD_1 src1_sel:DWORD
	v_lshrrev_b32_e32 v65, 16, v25
	v_mul_f16_e32 v48, 0xb964, v19
	v_lshrrev_b32_e32 v61, 16, v22
	v_mul_f16_sdwa v35, v26, v109 dst_sel:DWORD dst_unused:UNUSED_PAD src0_sel:WORD_1 src1_sel:DWORD
	v_fmamk_f16 v0, v25, 0x3b76, v33
	v_mov_b32_e32 v103, 0xbb29
	v_mul_f16_e32 v62, 0xbb29, v19
	v_fma_f16 v1, v65, 0x39e9, -v48
	v_fmamk_f16 v24, v61, 0x39e9, v35
	v_add_f16_e32 v0, v0, v6
	v_mul_f16_e32 v51, 0xbbf7, v26
	v_pk_add_f16 v27, v20, v2 neg_lo:[0,1] neg_hi:[0,1]
	v_pk_add_f16 v28, v2, v20
	v_mul_f16_sdwa v53, v19, v103 dst_sel:DWORD dst_unused:UNUSED_PAD src0_sel:WORD_1 src1_sel:DWORD
	v_fma_f16 v14, v65, 0x3722, -v62
	v_add_f16_sdwa v1, v1, v6 dst_sel:DWORD dst_unused:UNUSED_PAD src0_sel:DWORD src1_sel:WORD_1
	v_mov_b32_e32 v106, 0xba62
	v_add_f16_e32 v0, v24, v0
	v_fma_f16 v24, v22, 0x2de8, -v51
	v_mul_f16_e32 v70, 0xba62, v26
	v_mul_f16_sdwa v37, v27, v103 dst_sel:DWORD dst_unused:UNUSED_PAD src0_sel:WORD_1 src1_sel:DWORD
	v_lshrrev_b32_e32 v71, 16, v28
	v_mul_f16_e32 v46, 0xba62, v27
	v_fmamk_f16 v13, v25, 0x3722, v53
	v_add_f16_sdwa v14, v14, v6 dst_sel:DWORD dst_unused:UNUSED_PAD src0_sel:DWORD src1_sel:WORD_1
	v_mul_f16_sdwa v57, v26, v106 dst_sel:DWORD dst_unused:UNUSED_PAD src0_sel:WORD_1 src1_sel:DWORD
	v_add_f16_e32 v1, v24, v1
	v_fma_f16 v29, v22, 0xb8d2, -v70
	v_fmamk_f16 v30, v28, 0x3722, v37
	v_fma_f16 v31, v71, 0xb8d2, -v46
	v_mov_b32_e32 v32, 0x31e1
	v_mul_f16_e32 v72, 0x31e1, v27
	v_add_f16_e32 v13, v13, v6
	v_fmamk_f16 v24, v61, 0xb8d2, v57
	v_add_f16_e32 v14, v29, v14
	v_add_f16_e32 v0, v30, v0
	;; [unrolled: 1-line block ×3, first 2 shown]
	v_mul_f16_sdwa v58, v27, v32 dst_sel:DWORD dst_unused:UNUSED_PAD src0_sel:WORD_1 src1_sel:DWORD
	v_pk_add_f16 v29, v17, v5 neg_lo:[0,1] neg_hi:[0,1]
	v_mov_b32_e32 v110, 0xbbf7
	v_pk_add_f16 v30, v5, v17
	v_mov_b32_e32 v108, 0x3bb2
	v_fma_f16 v31, v71, 0xbbdd, -v72
	v_add_f16_e32 v13, v24, v13
	v_fmamk_f16 v24, v28, 0xbbdd, v58
	v_mul_f16_sdwa v47, v29, v110 dst_sel:DWORD dst_unused:UNUSED_PAD src0_sel:WORD_1 src1_sel:DWORD
	v_lshrrev_b32_e32 v75, 16, v30
	v_mul_f16_e32 v52, 0xb1e1, v29
	v_mul_f16_sdwa v55, v29, v108 dst_sel:DWORD dst_unused:UNUSED_PAD src0_sel:WORD_1 src1_sel:DWORD
	v_add_f16_e32 v14, v31, v14
	v_pk_add_f16 v31, v18, v4 neg_lo:[0,1] neg_hi:[0,1]
	v_mov_b32_e32 v107, 0xbbb2
	v_add_f16_e32 v13, v24, v13
	v_fmamk_f16 v24, v30, 0x2de8, v47
	v_mul_f16_e32 v78, 0x3bb2, v29
	v_fma_f16 v34, v75, 0xbbdd, -v52
	v_fmamk_f16 v36, v30, 0xb461, v55
	v_pk_add_f16 v32, v4, v18
	v_mul_f16_sdwa v50, v31, v107 dst_sel:DWORD dst_unused:UNUSED_PAD src0_sel:WORD_1 src1_sel:DWORD
	v_mov_b32_e32 v111, 0x3964
	v_fma_f16 v38, v75, 0xb461, -v78
	v_add_f16_e32 v0, v24, v0
	v_add_f16_e32 v1, v34, v1
	;; [unrolled: 1-line block ×3, first 2 shown]
	v_fmamk_f16 v24, v32, 0xb461, v50
	v_lshrrev_b32_e32 v79, 16, v32
	v_mul_f16_e32 v56, 0x3836, v31
	v_pk_add_f16 v34, v15, v9 neg_lo:[0,1] neg_hi:[0,1]
	v_pk_add_f16 v36, v9, v15
	v_mul_f16_sdwa v66, v31, v111 dst_sel:DWORD dst_unused:UNUSED_PAD src0_sel:WORD_1 src1_sel:DWORD
	v_mul_f16_e32 v85, 0x3964, v31
	v_add_f16_e32 v14, v38, v14
	v_add_f16_e32 v0, v24, v0
	v_fma_f16 v24, v79, 0xbacd, -v56
	v_mul_f16_sdwa v54, v34, v106 dst_sel:DWORD dst_unused:UNUSED_PAD src0_sel:WORD_1 src1_sel:DWORD
	v_lshrrev_b32_e32 v83, 16, v36
	v_mul_f16_e32 v63, 0x3bb2, v34
	v_fmamk_f16 v38, v32, 0x39e9, v66
	v_fma_f16 v43, v79, 0x39e9, -v85
	v_fmamk_f16 v44, v36, 0xb8d2, v54
	v_add_f16_e32 v1, v24, v1
	v_fma_f16 v24, v83, 0xb461, -v63
	v_add_f16_e32 v13, v38, v13
	v_add_f16_e32 v14, v43, v14
	v_mul_f16_sdwa v68, v34, v105 dst_sel:DWORD dst_unused:UNUSED_PAD src0_sel:WORD_1 src1_sel:DWORD
	v_mul_f16_e32 v91, 0xb5c8, v34
	v_pk_add_f16 v38, v16, v8 neg_lo:[0,1] neg_hi:[0,1]
	v_mov_b32_e32 v124, 0xb836
	v_pk_mul_f16 v43, 0x3b7639e9, v25
	v_add_f16_e32 v0, v44, v0
	v_add_f16_e32 v1, v24, v1
	v_fmamk_f16 v24, v36, 0x3b76, v68
	v_fma_f16 v45, v83, 0x3b76, -v91
	v_pk_add_f16 v44, v8, v16
	v_mul_f16_sdwa v64, v38, v124 dst_sel:DWORD dst_unused:UNUSED_PAD src0_sel:WORD_1 src1_sel:DWORD
	v_pk_mul_f16 v60, 0xbbf7b964, v26
	v_pk_fma_f16 v67, 0xb964b5c8, v19, v43 op_sel:[0,0,1] op_sel_hi:[1,1,0]
	v_add_f16_e32 v13, v24, v13
	v_add_f16_e32 v14, v45, v14
	v_fmamk_f16 v24, v44, 0xbacd, v64
	v_pk_fma_f16 v69, 0x2de839e9, v22, v60
	v_add_f16_sdwa v45, v67, v6 dst_sel:DWORD dst_unused:UNUSED_PAD src0_sel:WORD_1 src1_sel:DWORD
	v_pk_mul_f16 v82, 0x3722b8d2, v28
	v_lshrrev_b32_e32 v99, 16, v44
	v_mul_f16_e32 v77, 0x3b29, v38
	v_add_f16_e32 v101, v24, v0
	v_add_f16_sdwa v0, v69, v45 dst_sel:DWORD dst_unused:UNUSED_PAD src0_sel:WORD_1 src1_sel:DWORD
	v_pk_fma_f16 v73, 0xba62bb29, v27, v82 op_sel:[0,0,1] op_sel_hi:[1,1,0]
	v_pk_mul_f16 v24, 0x2de8bbdd, v30
	v_fma_f16 v45, v99, 0x3722, -v77
	v_mul_f16_sdwa v80, v38, v110 dst_sel:DWORD dst_unused:UNUSED_PAD src0_sel:WORD_1 src1_sel:DWORD
	v_mul_f16_e32 v89, 0xbbf7, v38
	v_add_f16_sdwa v0, v73, v0 dst_sel:DWORD dst_unused:UNUSED_PAD src0_sel:WORD_1 src1_sel:DWORD
	v_pk_fma_f16 v74, 0xb1e1bbf7, v29, v24 op_sel:[0,0,1] op_sel_hi:[1,1,0]
	v_pk_mul_f16 v87, 0xb461bacd, v32
	v_add_f16_e32 v45, v45, v1
	v_fmamk_f16 v1, v44, 0x2de8, v80
	v_fma_f16 v59, v99, 0x2de8, -v89
	v_pk_fma_f16 v84, 0xb964b5c8, v19, v43 op_sel:[0,0,1] op_sel_hi:[1,1,0] neg_lo:[0,1,0] neg_hi:[0,1,0]
	v_add_f16_sdwa v0, v74, v0 dst_sel:DWORD dst_unused:UNUSED_PAD src0_sel:WORD_1 src1_sel:DWORD
	v_pk_fma_f16 v76, 0x3836bbb2, v31, v87 op_sel:[0,0,1] op_sel_hi:[1,1,0]
	v_pk_mul_f16 v93, 0xb8d2b461, v36
	v_add_f16_e32 v1, v1, v13
	v_add_f16_e32 v14, v59, v14
	v_pk_add_f16 v59, v10, v11 neg_lo:[0,1] neg_hi:[0,1]
	v_pk_fma_f16 v86, 0x2de839e9, v22, v60 neg_lo:[0,0,1] neg_hi:[0,0,1]
	v_add_f16_sdwa v13, v84, v6 dst_sel:DWORD dst_unused:UNUSED_PAD src0_sel:DWORD src1_sel:WORD_1
	v_add_f16_sdwa v0, v76, v0 dst_sel:DWORD dst_unused:UNUSED_PAD src0_sel:WORD_1 src1_sel:DWORD
	v_pk_fma_f16 v81, 0x3bb2ba62, v34, v93 op_sel:[0,0,1] op_sel_hi:[1,1,0]
	v_pk_mul_f16 v43, 0xbacd3722, v44
	v_pk_add_f16 v60, v11, v10
	v_mul_f16_sdwa v96, v59, v124 dst_sel:DWORD dst_unused:UNUSED_PAD src0_sel:WORD_1 src1_sel:DWORD
	v_pk_fma_f16 v88, 0xba62bb29, v27, v82 op_sel:[0,0,1] op_sel_hi:[1,1,0] neg_lo:[0,1,0] neg_hi:[0,1,0]
	v_add_f16_e32 v13, v86, v13
	v_add_f16_sdwa v0, v81, v0 dst_sel:DWORD dst_unused:UNUSED_PAD src0_sel:WORD_1 src1_sel:DWORD
	v_pk_fma_f16 v82, 0x3b29b836, v38, v43 op_sel:[0,0,1] op_sel_hi:[1,1,0]
	v_fmamk_f16 v92, v60, 0xbacd, v96
	v_pk_fma_f16 v90, 0xb1e1bbf7, v29, v24 op_sel:[0,0,1] op_sel_hi:[1,1,0] neg_lo:[0,1,0] neg_hi:[0,1,0]
	v_add_f16_e32 v13, v88, v13
	v_pk_fma_f16 v94, 0x3bb2ba62, v34, v93 op_sel:[0,0,1] op_sel_hi:[1,1,0] neg_lo:[0,1,0] neg_hi:[0,1,0]
	v_add_f16_sdwa v104, v82, v0 dst_sel:DWORD dst_unused:UNUSED_PAD src0_sel:WORD_1 src1_sel:DWORD
	v_add_f16_e32 v0, v92, v1
	v_pk_fma_f16 v92, 0x3836bbb2, v31, v87 op_sel:[0,0,1] op_sel_hi:[1,1,0] neg_lo:[0,1,0] neg_hi:[0,1,0]
	v_add_f16_e32 v1, v90, v13
	v_mov_b32_e32 v125, 0xb1e1
	s_clause 0x1
	s_load_dwordx2 s[6:7], s[4:5], 0x20
	s_load_dwordx2 s[2:3], s[4:5], 0x8
	v_pk_mul_f16 v24, 0xbbdd3b76, v60
	v_lshrrev_b32_e32 v102, 16, v60
	v_add_f16_e32 v1, v92, v1
	v_mul_f16_e32 v98, 0x35c8, v59
	v_mul_f16_e32 v100, 0xb836, v59
	v_pk_fma_f16 v95, 0x3b29b836, v38, v43 op_sel:[0,0,1] op_sel_hi:[1,1,0] neg_lo:[0,1,0] neg_hi:[0,1,0]
	v_mul_f16_sdwa v93, v59, v125 dst_sel:DWORD dst_unused:UNUSED_PAD src0_sel:WORD_1 src1_sel:DWORD
	v_add_f16_e32 v1, v94, v1
	v_pk_fma_f16 v87, 0x35c8b1e1, v59, v24 op_sel:[0,0,1] op_sel_hi:[1,1,0]
	v_fma_f16 v13, v102, 0x3b76, -v98
	v_fma_f16 v43, v102, 0xbacd, -v100
	v_pk_fma_f16 v97, 0x35c8b1e1, v59, v24 op_sel:[0,0,1] op_sel_hi:[1,1,0] neg_lo:[0,1,0] neg_hi:[0,1,0]
	v_fmamk_f16 v112, v60, 0xbbdd, v93
	v_add_f16_e32 v113, v95, v1
	v_add_f16_sdwa v1, v87, v104 dst_sel:DWORD dst_unused:UNUSED_PAD src0_sel:WORD_1 src1_sel:DWORD
	v_add_f16_e32 v13, v13, v45
	v_add_f16_e32 v24, v43, v14
	;; [unrolled: 1-line block ×4, first 2 shown]
	v_mul_lo_u16 v43, v41, 17
	s_waitcnt lgkmcnt(0)
	s_barrier
	buffer_gl0_inv
	s_and_saveexec_b32 s0, vcc_lo
	s_cbranch_execz .LBB0_7
; %bb.6:
	v_mul_f16_e32 v120, 0x2de8, v65
	v_mul_f16_e32 v119, 0xbbdd, v22
	v_mul_f16_sdwa v115, v19, v110 dst_sel:DWORD dst_unused:UNUSED_PAD src0_sel:WORD_1 src1_sel:DWORD
	v_mul_f16_e32 v116, 0xb461, v71
	v_mul_f16_sdwa v113, v26, v125 dst_sel:DWORD dst_unused:UNUSED_PAD src0_sel:WORD_1 src1_sel:DWORD
	v_fmamk_f16 v101, v19, 0x3bf7, v120
	v_fmamk_f16 v117, v26, 0x31e1, v119
	;; [unrolled: 1-line block ×3, first 2 shown]
	v_mul_f16_e32 v114, 0x3b76, v75
	v_mul_f16_sdwa v112, v27, v108 dst_sel:DWORD dst_unused:UNUSED_PAD src0_sel:WORD_1 src1_sel:DWORD
	v_add_f16_sdwa v101, v101, v6 dst_sel:DWORD dst_unused:UNUSED_PAD src0_sel:DWORD src1_sel:WORD_1
	v_mov_b32_e32 v118, 0x35c8
	v_fmamk_f16 v121, v61, 0xbbdd, v113
	v_add_f16_e32 v104, v104, v6
	v_fmamk_f16 v122, v27, 0xbbb2, v116
	v_add_f16_e32 v101, v117, v101
	v_fmamk_f16 v123, v28, 0xb461, v112
	v_mul_f16_sdwa v117, v29, v118 dst_sel:DWORD dst_unused:UNUSED_PAD src0_sel:WORD_1 src1_sel:DWORD
	v_add_f16_e32 v104, v121, v104
	v_fmamk_f16 v121, v29, 0xb5c8, v114
	v_add_f16_e32 v101, v122, v101
	v_mul_f16_e32 v122, 0x3722, v79
	v_fmamk_f16 v126, v30, 0x3b76, v117
	v_add_f16_e32 v104, v123, v104
	v_mul_f16_sdwa v118, v31, v103 dst_sel:DWORD dst_unused:UNUSED_PAD src0_sel:WORD_1 src1_sel:DWORD
	v_add_f16_e32 v101, v121, v101
	v_fmamk_f16 v121, v31, 0x3b29, v122
	v_mul_f16_e32 v123, 0xbacd, v83
	v_add_f16_e32 v104, v126, v104
	v_mul_f16_e32 v126, 0xb461, v65
	v_fmamk_f16 v127, v32, 0x3722, v118
	v_add_f16_e32 v101, v121, v101
	v_mul_f16_sdwa v121, v34, v124 dst_sel:DWORD dst_unused:UNUSED_PAD src0_sel:WORD_1 src1_sel:DWORD
	v_fmamk_f16 v128, v34, 0x3836, v123
	v_fmamk_f16 v129, v19, 0x3bb2, v126
	v_mul_f16_e32 v130, 0xbacd, v22
	v_add_f16_e32 v104, v127, v104
	v_fmamk_f16 v127, v36, 0xbacd, v121
	v_add_f16_e32 v101, v128, v101
	v_add_f16_sdwa v128, v129, v6 dst_sel:DWORD dst_unused:UNUSED_PAD src0_sel:DWORD src1_sel:WORD_1
	v_fmamk_f16 v129, v26, 0xb836, v130
	v_mul_f16_e32 v131, 0x39e9, v71
	v_add_f16_e32 v104, v127, v104
	v_mul_f16_e32 v127, 0xb8d2, v99
	v_mov_b32_e32 v132, 0x3a62
	v_add_f16_e32 v128, v129, v128
	v_fmamk_f16 v129, v27, 0xb964, v131
	v_mul_f16_e32 v133, 0x3722, v75
	v_fmamk_f16 v134, v38, 0xba62, v127
	v_mul_f16_e32 v135, 0x39e9, v102
	v_mul_f16_sdwa v136, v38, v132 dst_sel:DWORD dst_unused:UNUSED_PAD src0_sel:WORD_1 src1_sel:DWORD
	v_add_f16_e32 v128, v129, v128
	v_fmamk_f16 v129, v29, 0x3b29, v133
	v_mul_f16_e32 v137, 0xbbdd, v79
	v_add_f16_e32 v101, v134, v101
	v_fmamk_f16 v134, v59, 0xb964, v135
	v_fmamk_f16 v138, v44, 0xb8d2, v136
	v_add_f16_e32 v128, v129, v128
	v_fmamk_f16 v129, v31, 0x31e1, v137
	v_mul_f16_e32 v140, 0x3b76, v99
	v_add_f16_e32 v101, v134, v101
	v_mul_f16_e32 v134, 0x2de8, v83
	v_add_f16_e32 v104, v138, v104
	v_add_f16_e32 v128, v129, v128
	v_mul_f16_sdwa v129, v19, v107 dst_sel:DWORD dst_unused:UNUSED_PAD src0_sel:WORD_1 src1_sel:DWORD
	v_mov_b32_e32 v138, 0x3836
	v_fmamk_f16 v139, v34, 0xbbf7, v134
	v_mul_f16_sdwa v141, v59, v111 dst_sel:DWORD dst_unused:UNUSED_PAD src0_sel:WORD_1 src1_sel:DWORD
	v_mul_f16_e32 v143, 0xb8d2, v102
	v_fmamk_f16 v142, v25, 0xb461, v129
	v_mul_f16_sdwa v138, v26, v138 dst_sel:DWORD dst_unused:UNUSED_PAD src0_sel:WORD_1 src1_sel:DWORD
	v_add_f16_e32 v128, v139, v128
	v_fmamk_f16 v139, v38, 0x35c8, v140
	v_mul_f16_sdwa v145, v27, v111 dst_sel:DWORD dst_unused:UNUSED_PAD src0_sel:WORD_1 src1_sel:DWORD
	v_add_f16_e32 v142, v142, v6
	v_fmamk_f16 v144, v61, 0xbacd, v138
	v_fmamk_f16 v146, v60, 0x39e9, v141
	v_add_f16_e32 v128, v139, v128
	v_fmamk_f16 v139, v59, 0x3a62, v143
	v_mul_f16_sdwa v147, v29, v103 dst_sel:DWORD dst_unused:UNUSED_PAD src0_sel:WORD_1 src1_sel:DWORD
	v_add_f16_e32 v142, v144, v142
	v_fmamk_f16 v144, v28, 0x39e9, v145
	v_add_f16_e32 v103, v146, v104
	v_add_f16_e32 v104, v139, v128
	v_mul_f16_e32 v128, 0xb8d2, v65
	v_mov_b32_e32 v146, 0x3bf7
	v_add_f16_e32 v139, v144, v142
	v_fmamk_f16 v142, v30, 0x3722, v147
	v_mul_f16_sdwa v144, v31, v125 dst_sel:DWORD dst_unused:UNUSED_PAD src0_sel:WORD_1 src1_sel:DWORD
	v_fmamk_f16 v148, v19, 0x3a62, v128
	v_mul_f16_e32 v149, 0xb461, v22
	v_mul_f16_sdwa v150, v34, v146 dst_sel:DWORD dst_unused:UNUSED_PAD src0_sel:WORD_1 src1_sel:DWORD
	v_add_f16_e32 v139, v142, v139
	v_fmamk_f16 v142, v32, 0xbbdd, v144
	v_add_f16_sdwa v148, v148, v6 dst_sel:DWORD dst_unused:UNUSED_PAD src0_sel:DWORD src1_sel:WORD_1
	v_fmamk_f16 v151, v26, 0xbbb2, v149
	v_mul_f16_e32 v152, 0x3b76, v71
	v_mul_f16_sdwa v153, v38, v105 dst_sel:DWORD dst_unused:UNUSED_PAD src0_sel:WORD_1 src1_sel:DWORD
	v_add_f16_e32 v139, v142, v139
	v_fmamk_f16 v142, v36, 0x2de8, v150
	v_add_f16_e32 v148, v151, v148
	v_fmamk_f16 v151, v27, 0x35c8, v152
	v_mul_f16_e32 v154, 0xbacd, v75
	v_mul_f16_sdwa v155, v59, v106 dst_sel:DWORD dst_unused:UNUSED_PAD src0_sel:WORD_1 src1_sel:DWORD
	v_add_f16_e32 v139, v142, v139
	v_fmamk_f16 v142, v44, 0x3b76, v153
	v_add_f16_e32 v148, v151, v148
	;; [unrolled: 6-line block ×3, first 2 shown]
	v_fmamk_f16 v151, v31, 0xbbf7, v156
	v_mul_f16_e32 v158, 0x39e9, v83
	v_mul_f16_sdwa v160, v27, v105 dst_sel:DWORD dst_unused:UNUSED_PAD src0_sel:WORD_1 src1_sel:DWORD
	v_add_f16_e32 v106, v142, v139
	v_fmamk_f16 v139, v25, 0xb8d2, v157
	v_mul_f16_sdwa v142, v26, v108 dst_sel:DWORD dst_unused:UNUSED_PAD src0_sel:WORD_1 src1_sel:DWORD
	v_add_f16_e32 v108, v151, v148
	v_fmamk_f16 v148, v34, 0x3964, v158
	v_mul_f16_e32 v151, 0xbbdd, v99
	v_add_f16_e32 v139, v139, v6
	v_fmamk_f16 v159, v61, 0xb461, v142
	v_mul_f16_e32 v161, 0x3722, v102
	v_add_f16_e32 v108, v148, v108
	v_fmamk_f16 v148, v38, 0x31e1, v151
	v_mul_f16_sdwa v162, v29, v124 dst_sel:DWORD dst_unused:UNUSED_PAD src0_sel:WORD_1 src1_sel:DWORD
	v_add_f16_e32 v139, v159, v139
	v_fmamk_f16 v159, v28, 0x3b76, v160
	v_mul_f16_e32 v163, 0xbacd, v65
	v_add_f16_e32 v108, v148, v108
	v_fmamk_f16 v148, v59, 0xbb29, v161
	v_mul_f16_sdwa v146, v31, v146 dst_sel:DWORD dst_unused:UNUSED_PAD src0_sel:WORD_1 src1_sel:DWORD
	;; [unrolled: 6-line block ×3, first 2 shown]
	v_add_f16_e32 v139, v159, v139
	v_fmamk_f16 v159, v32, 0x2de8, v146
	v_mul_f16_e32 v166, 0x2de8, v71
	v_add_f16_sdwa v109, v148, v6 dst_sel:DWORD dst_unused:UNUSED_PAD src0_sel:DWORD src1_sel:WORD_1
	v_fmamk_f16 v148, v26, 0xbb29, v164
	v_mul_f16_sdwa v167, v38, v125 dst_sel:DWORD dst_unused:UNUSED_PAD src0_sel:WORD_1 src1_sel:DWORD
	v_add_f16_e32 v139, v159, v139
	v_fmamk_f16 v159, v36, 0x39e9, v165
	v_mul_f16_e32 v168, 0xb8d2, v75
	v_add_f16_e32 v109, v148, v109
	v_fmamk_f16 v148, v27, 0x3bf7, v166
	v_mov_b32_e32 v169, 0x3b29
	v_add_f16_e32 v139, v159, v139
	v_fmamk_f16 v159, v44, 0xbbdd, v167
	v_mul_f16_e32 v170, 0x3b76, v79
	v_add_f16_e32 v109, v148, v109
	v_fmamk_f16 v148, v29, 0xba62, v168
	v_mul_f16_sdwa v124, v19, v124 dst_sel:DWORD dst_unused:UNUSED_PAD src0_sel:WORD_1 src1_sel:DWORD
	v_add_f16_e32 v139, v159, v139
	v_mul_f16_sdwa v159, v59, v169 dst_sel:DWORD dst_unused:UNUSED_PAD src0_sel:WORD_1 src1_sel:DWORD
	v_mul_f16_e32 v171, 0xbbdd, v83
	v_add_f16_e32 v109, v148, v109
	v_fmamk_f16 v148, v31, 0x35c8, v170
	v_fmamk_f16 v173, v25, 0xbacd, v124
	v_mul_f16_sdwa v169, v26, v169 dst_sel:DWORD dst_unused:UNUSED_PAD src0_sel:WORD_1 src1_sel:DWORD
	v_fmamk_f16 v172, v60, 0x3722, v159
	v_mul_f16_e32 v174, 0x39e9, v99
	v_add_f16_e32 v109, v148, v109
	v_fmamk_f16 v148, v34, 0x31e1, v171
	v_add_f16_e32 v173, v173, v6
	v_fmamk_f16 v175, v61, 0x3722, v169
	v_fmamk_f16 v176, v38, 0xb964, v174
	v_fmac_f16_e32 v163, 0xb836, v19
	v_add_f16_e32 v148, v148, v109
	v_add_f16_e32 v109, v172, v139
	;; [unrolled: 1-line block ×3, first 2 shown]
	v_mul_f16_e32 v173, 0xb461, v102
	v_mul_f16_sdwa v175, v31, v105 dst_sel:DWORD dst_unused:UNUSED_PAD src0_sel:WORD_1 src1_sel:DWORD
	v_add_f16_e32 v148, v176, v148
	v_add_f16_sdwa v163, v163, v6 dst_sel:DWORD dst_unused:UNUSED_PAD src0_sel:DWORD src1_sel:WORD_1
	v_fmac_f16_e32 v164, 0x3b29, v26
	v_fmamk_f16 v105, v59, 0x3bb2, v173
	v_fma_f16 v124, v25, 0xbacd, -v124
	v_mul_f16_sdwa v110, v27, v110 dst_sel:DWORD dst_unused:UNUSED_PAD src0_sel:WORD_1 src1_sel:DWORD
	v_mul_f16_sdwa v132, v29, v132 dst_sel:DWORD dst_unused:UNUSED_PAD src0_sel:WORD_1 src1_sel:DWORD
	v_fmac_f16_e32 v128, 0xba62, v19
	v_add_f16_e32 v105, v105, v148
	v_add_f16_e32 v148, v164, v163
	;; [unrolled: 1-line block ×3, first 2 shown]
	v_fma_f16 v164, v61, 0x3722, -v169
	v_fmamk_f16 v172, v28, 0x2de8, v110
	v_fma_f16 v110, v28, 0x2de8, -v110
	v_add_f16_sdwa v128, v128, v6 dst_sel:DWORD dst_unused:UNUSED_PAD src0_sel:DWORD src1_sel:WORD_1
	v_fmac_f16_e32 v149, 0x3bb2, v26
	v_add_f16_e32 v124, v164, v124
	v_add_f16_e32 v139, v172, v139
	v_fmamk_f16 v172, v30, 0xb8d2, v132
	v_mul_f16_sdwa v125, v34, v125 dst_sel:DWORD dst_unused:UNUSED_PAD src0_sel:WORD_1 src1_sel:DWORD
	v_add_f16_e32 v128, v149, v128
	v_add_f16_e32 v110, v110, v124
	v_fma_f16 v124, v30, 0xb8d2, -v132
	v_add_f16_e32 v139, v172, v139
	v_fmamk_f16 v172, v32, 0x3b76, v175
	v_fmac_f16_e32 v152, 0xb5c8, v27
	v_fmamk_f16 v163, v36, 0xbbdd, v125
	v_add_f16_e32 v110, v124, v110
	v_fma_f16 v124, v32, 0x3b76, -v175
	v_add_f16_e32 v139, v172, v139
	v_mul_f16_sdwa v111, v38, v111 dst_sel:DWORD dst_unused:UNUSED_PAD src0_sel:WORD_1 src1_sel:DWORD
	v_fma_f16 v125, v36, 0xbbdd, -v125
	v_add_f16_e32 v128, v152, v128
	v_add_f16_e32 v110, v124, v110
	v_fma_f16 v124, v25, 0xb8d2, -v157
	v_fmac_f16_e32 v154, 0xb836, v29
	v_fma_f16 v142, v61, 0xb461, -v142
	v_add_f16_e32 v139, v163, v139
	v_fmamk_f16 v163, v44, 0x39e9, v111
	v_add_f16_e32 v124, v124, v6
	v_add_f16_e32 v110, v125, v110
	;; [unrolled: 1-line block ×3, first 2 shown]
	v_fmac_f16_e32 v156, 0x3bf7, v31
	v_fma_f16 v111, v44, 0x39e9, -v111
	v_add_f16_e32 v124, v142, v124
	v_fma_f16 v128, v28, 0x3b76, -v160
	v_mul_f16_sdwa v107, v59, v107 dst_sel:DWORD dst_unused:UNUSED_PAD src0_sel:WORD_1 src1_sel:DWORD
	v_add_f16_e32 v125, v156, v125
	v_fmac_f16_e32 v158, 0xb964, v34
	v_add_f16_e32 v110, v111, v110
	v_add_f16_e32 v111, v128, v124
	v_fma_f16 v124, v30, 0xbacd, -v162
	v_add_f16_e32 v139, v163, v139
	v_fmamk_f16 v163, v60, 0xb461, v107
	v_fma_f16 v107, v60, 0xb461, -v107
	v_add_f16_e32 v125, v158, v125
	v_fmac_f16_e32 v151, 0xb1e1, v38
	v_fmac_f16_e32 v126, 0xbbb2, v19
	v_add_f16_e32 v111, v124, v111
	v_fma_f16 v124, v32, 0x2de8, -v146
	v_add_f16_e32 v107, v107, v110
	v_add_f16_e32 v110, v151, v125
	v_add_f16_sdwa v125, v126, v6 dst_sel:DWORD dst_unused:UNUSED_PAD src0_sel:DWORD src1_sel:WORD_1
	v_fma_f16 v126, v25, 0xb461, -v129
	v_add_f16_e32 v111, v124, v111
	v_fma_f16 v124, v36, 0x39e9, -v165
	v_fma_f16 v128, v61, 0xbacd, -v138
	v_fmac_f16_e32 v120, 0xbbf7, v19
	v_add_f16_e32 v126, v126, v6
	v_fmac_f16_e32 v119, 0xb1e1, v26
	v_add_f16_e32 v111, v124, v111
	v_fma_f16 v124, v44, 0xbbdd, -v167
	v_add_f16_sdwa v120, v120, v6 dst_sel:DWORD dst_unused:UNUSED_PAD src0_sel:DWORD src1_sel:WORD_1
	v_fmac_f16_e32 v116, 0x3bb2, v27
	v_fmac_f16_e32 v114, 0x35c8, v29
	v_fma_f16 v115, v25, 0x2de8, -v115
	v_add_f16_e32 v111, v124, v111
	v_add_f16_e32 v124, v128, v126
	v_fma_f16 v126, v28, 0x39e9, -v145
	v_add_f16_e32 v119, v119, v120
	v_add_f16_e32 v115, v115, v6
	v_fma_f16 v113, v61, 0xbbdd, -v113
	v_fma_f16 v112, v28, 0xb461, -v112
	v_add_f16_e32 v124, v126, v124
	v_fma_f16 v126, v30, 0x3722, -v147
	v_add_f16_e32 v116, v116, v119
	v_add_f16_e32 v113, v113, v115
	v_alignbit_b32 v49, v49, v49, 16
	v_fmac_f16_e32 v122, 0xbb29, v31
	v_add_f16_e32 v124, v126, v124
	v_fma_f16 v126, v32, 0xbbdd, -v144
	v_add_f16_e32 v114, v114, v116
	v_add_f16_e32 v112, v112, v113
	v_fma_f16 v113, v30, 0x3b76, -v117
	v_fma_f16 v118, v32, 0x3722, -v118
	v_add_f16_e32 v120, v126, v124
	v_fma_f16 v124, v36, 0x2de8, -v150
	v_add_f16_e32 v114, v122, v114
	v_add_f16_e32 v112, v113, v112
	v_fmac_f16_e32 v123, 0xb836, v34
	v_mul_f16_e32 v113, 0x3722, v25
	v_add_f16_e32 v119, v124, v120
	v_fma_f16 v120, v44, 0x3b76, -v153
	v_add_f16_e32 v112, v118, v112
	v_mul_f16_e32 v118, 0xb8d2, v22
	v_fma_f16 v121, v36, 0xbacd, -v121
	v_add_f16_e32 v114, v123, v114
	v_add_f16_e32 v116, v120, v119
	v_fma_f16 v119, v60, 0xb8d2, -v155
	v_mul_f16_e32 v122, 0x39e9, v61
	v_mul_f16_e32 v61, 0xb8d2, v61
	v_add_f16_e32 v70, v70, v118
	v_add_f16_e32 v112, v121, v112
	;; [unrolled: 1-line block ×3, first 2 shown]
	v_alignbit_b32 v116, v6, v6, 16
	v_mul_f16_e32 v119, 0x39e9, v65
	v_mul_f16_e32 v65, 0x3722, v65
	;; [unrolled: 1-line block ×3, first 2 shown]
	v_fma_f16 v123, v44, 0xb8d2, -v136
	v_pk_add_f16 v7, v7, v116 op_sel:[0,1] op_sel_hi:[1,0]
	v_sub_f16_e32 v53, v113, v53
	v_add_f16_e32 v62, v62, v65
	v_mul_f16_e32 v65, 0x2de8, v22
	v_add_f16_e32 v72, v72, v121
	v_pk_add_f16 v7, v49, v7
	v_add_f16_e32 v112, v123, v112
	v_add_f16_sdwa v62, v62, v6 dst_sel:DWORD dst_unused:UNUSED_PAD src0_sel:DWORD src1_sel:WORD_1
	v_mul_f16_e32 v123, 0xb461, v75
	v_add_f16_e32 v53, v53, v6
	v_pk_add_f16 v7, v20, v7
	v_sub_f16_e32 v57, v61, v57
	v_add_f16_e32 v62, v70, v62
	v_mul_f16_e32 v70, 0xbbdd, v28
	v_add_f16_e32 v48, v48, v119
	v_pk_add_f16 v7, v17, v7
	v_mul_f16_e32 v117, 0x3b76, v25
	v_mul_f16_e32 v71, 0xb8d2, v71
	v_add_f16_e32 v62, v72, v62
	v_mul_f16_e32 v72, 0xb461, v30
	v_pk_add_f16 v7, v18, v7
	v_add_f16_e32 v78, v78, v123
	v_mul_f16_e32 v123, 0x39e9, v79
	v_add_f16_e32 v53, v57, v53
	v_sub_f16_e32 v58, v70, v58
	v_add_f16_sdwa v48, v48, v6 dst_sel:DWORD dst_unused:UNUSED_PAD src0_sel:DWORD src1_sel:WORD_1
	v_add_f16_e32 v51, v51, v65
	v_pk_add_f16 v7, v15, v7
	v_mul_f16_e32 v75, 0xbbdd, v75
	v_add_f16_e32 v62, v78, v62
	v_mul_f16_e32 v78, 0x39e9, v32
	v_add_f16_e32 v85, v85, v123
	;; [unrolled: 2-line block ×3, first 2 shown]
	v_sub_f16_e32 v55, v72, v55
	v_add_f16_e32 v48, v51, v48
	v_add_f16_e32 v46, v46, v71
	v_sub_f16_e32 v33, v117, v33
	v_pk_add_f16 v7, v16, v7
	v_mul_f16_e32 v118, 0x3722, v28
	v_mul_f16_e32 v79, 0xbacd, v79
	v_add_f16_e32 v62, v85, v62
	v_mul_f16_e32 v85, 0x3b76, v36
	v_add_f16_e32 v91, v91, v123
	v_add_f16_e32 v49, v55, v53
	v_sub_f16_e32 v51, v78, v66
	v_add_f16_e32 v46, v46, v48
	v_add_f16_e32 v20, v52, v75
	;; [unrolled: 1-line block ×3, first 2 shown]
	v_sub_f16_e32 v15, v122, v35
	v_pk_add_f16 v7, v10, v7
	v_mul_f16_e32 v121, 0x2de8, v30
	v_fma_f16 v124, v60, 0x39e9, -v141
	v_mul_f16_e32 v83, 0xb461, v83
	v_add_f16_e32 v62, v91, v62
	v_mul_f16_e32 v91, 0x2de8, v44
	v_add_f16_e32 v48, v51, v49
	v_sub_f16_e32 v49, v85, v68
	v_add_f16_e32 v17, v20, v46
	v_add_f16_e32 v20, v56, v79
	;; [unrolled: 1-line block ×3, first 2 shown]
	v_sub_f16_e32 v15, v118, v37
	v_pk_add_f16 v7, v11, v7
	v_add_f16_e32 v112, v124, v112
	v_mul_f16_e32 v124, 0xb461, v32
	v_mul_f16_e32 v61, 0x3722, v99
	v_mul_f16_e32 v70, 0xbacd, v60
	v_add_f16_e32 v46, v49, v48
	v_sub_f16_e32 v18, v91, v80
	v_add_f16_e32 v17, v20, v17
	v_add_f16_e32 v20, v63, v83
	;; [unrolled: 1-line block ×3, first 2 shown]
	v_sub_f16_e32 v15, v121, v47
	v_pk_add_f16 v7, v8, v7
	v_mul_f16_e32 v113, 0xb8d2, v36
	v_mul_f16_e32 v119, 0x3b76, v102
	v_add_f16_e32 v18, v18, v46
	v_add_f16_e32 v17, v20, v17
	;; [unrolled: 1-line block ×3, first 2 shown]
	v_sub_f16_e32 v16, v70, v96
	v_add_f16_e32 v6, v15, v6
	v_sub_f16_e32 v15, v124, v50
	v_bfi_b32 v8, 0xffff, v67, v84
	v_pk_add_f16 v7, v9, v7
	v_mul_f16_e32 v123, 0xbacd, v44
	v_add_f16_e32 v17, v20, v17
	v_add_f16_e32 v10, v98, v119
	;; [unrolled: 1-line block ×3, first 2 shown]
	v_bfi_b32 v16, 0xffff, v69, v86
	v_add_f16_e32 v6, v15, v6
	v_sub_f16_e32 v9, v113, v54
	v_pk_add_f16 v4, v4, v7
	v_pk_add_f16 v7, v8, v116
	v_mul_f16_e32 v57, 0xbbdd, v60
	v_add_f16_e32 v10, v10, v17
	v_bfi_b32 v17, 0xffff, v73, v88
	v_add_f16_e32 v6, v9, v6
	v_sub_f16_e32 v8, v123, v64
	v_pk_add_f16 v4, v5, v4
	v_pk_add_f16 v7, v16, v7
	v_bfi_b32 v15, 0xffff, v74, v90
	v_pk_mul_f16 v16, 0xbbdd, v25 op_sel_hi:[0,1]
	v_add_f16_e32 v6, v8, v6
	v_sub_f16_e32 v8, v57, v93
	v_pk_add_f16 v2, v2, v4
	v_and_b32_e32 v4, 0xffff, v43
	v_pk_add_f16 v7, v17, v7
	v_bfi_b32 v18, 0xffff, v76, v92
	v_add_f16_e32 v6, v8, v6
	v_pk_add_f16 v2, v3, v2
	v_add_lshl_u32 v3, v23, v4, 2
	v_pk_add_f16 v4, v15, v7
	v_pk_fma_f16 v7, 0xb1e1, v19, v16 op_sel:[0,0,1] op_sel_hi:[0,1,0] neg_lo:[0,1,0] neg_hi:[0,1,0]
	v_pk_mul_f16 v8, 0x35c8, v26 op_sel_hi:[0,1]
	v_pk_fma_f16 v15, 0xb1e1, v19, v16 op_sel:[0,0,1] op_sel_hi:[0,1,0]
	v_fmac_f16_e32 v130, 0x3836, v26
	v_bfi_b32 v33, 0xffff, v81, v94
	v_pk_add_f16 v4, v18, v4
	v_pk_add_f16 v7, v7, v116
	v_pk_fma_f16 v16, 0x3b76, v22, v8 op_sel_hi:[0,1,1] neg_lo:[0,0,1] neg_hi:[0,0,1]
	v_pk_mul_f16 v17, 0xbacd, v28 op_sel_hi:[0,1]
	v_pk_add_f16 v15, v15, v116
	v_pk_fma_f16 v8, 0x3b76, v22, v8 op_sel_hi:[0,1,1]
	v_add_f16_e32 v125, v130, v125
	v_fmac_f16_e32 v131, 0x3964, v27
	v_fmac_f16_e32 v166, 0xbbf7, v27
	v_bfi_b32 v9, 0xffff, v82, v95
	v_pk_add_f16 v4, v33, v4
	v_pk_add_f16 v7, v16, v7
	v_pk_fma_f16 v16, 0xb836, v27, v17 op_sel:[0,0,1] op_sel_hi:[0,1,0] neg_lo:[0,1,0] neg_hi:[0,1,0]
	v_pk_mul_f16 v18, 0x39e9, v30 op_sel_hi:[0,1]
	v_pk_add_f16 v8, v8, v15
	v_pk_fma_f16 v15, 0xb836, v27, v17 op_sel:[0,0,1] op_sel_hi:[0,1,0]
	v_add_f16_e32 v125, v131, v125
	v_fmac_f16_e32 v133, 0xbb29, v29
	v_add_f16_e32 v148, v166, v148
	v_fmac_f16_e32 v168, 0x3a62, v29
	v_bfi_b32 v5, 0xffff, v87, v97
	v_pk_add_f16 v4, v9, v4
	v_pk_add_f16 v7, v16, v7
	v_pk_fma_f16 v9, 0x3964, v29, v18 op_sel:[0,0,1] op_sel_hi:[0,1,0] neg_lo:[0,1,0] neg_hi:[0,1,0]
	v_pk_mul_f16 v16, 0xb8d2, v32 op_sel_hi:[0,1]
	v_pk_add_f16 v8, v15, v8
	v_pk_fma_f16 v15, 0x3964, v29, v18 op_sel:[0,0,1] op_sel_hi:[0,1,0]
	v_add_f16_e32 v125, v133, v125
	v_fmac_f16_e32 v137, 0xb1e1, v31
	v_add_f16_e32 v148, v168, v148
	v_fmac_f16_e32 v170, 0xb5c8, v31
	v_pk_add_f16 v4, v5, v4
	v_pk_add_f16 v5, v9, v7
	v_pk_fma_f16 v7, 0xba62, v31, v16 op_sel:[0,0,1] op_sel_hi:[0,1,0] neg_lo:[0,1,0] neg_hi:[0,1,0]
	v_pk_mul_f16 v9, 0x3722, v36 op_sel_hi:[0,1]
	v_pk_add_f16 v8, v15, v8
	v_pk_fma_f16 v15, 0xba62, v31, v16 op_sel:[0,0,1] op_sel_hi:[0,1,0]
	v_mul_f16_e32 v99, 0x2de8, v99
	v_add_f16_e32 v125, v137, v125
	v_fmac_f16_e32 v134, 0x3bf7, v34
	v_add_f16_e32 v148, v170, v148
	v_fmac_f16_e32 v171, 0xb1e1, v34
	v_pk_add_f16 v5, v7, v5
	v_pk_fma_f16 v7, 0x3b29, v34, v9 op_sel:[0,0,1] op_sel_hi:[0,1,0] neg_lo:[0,1,0] neg_hi:[0,1,0]
	v_pk_mul_f16 v16, 0xb461, v44 op_sel_hi:[0,1]
	v_pk_add_f16 v8, v15, v8
	v_pk_fma_f16 v9, 0x3b29, v34, v9 op_sel:[0,0,1] op_sel_hi:[0,1,0]
	v_fmac_f16_e32 v127, 0x3a62, v38
	v_mul_f16_e32 v102, 0xbacd, v102
	v_add_f16_e32 v58, v89, v99
	v_add_f16_e32 v125, v134, v125
	v_fmac_f16_e32 v140, 0xb5c8, v38
	v_add_f16_e32 v132, v171, v148
	v_fmac_f16_e32 v174, 0x3964, v38
	v_alignbit_b32 v10, v10, v4, 16
	v_pack_b32_f16 v4, v6, v4
	v_pk_add_f16 v5, v7, v5
	v_pk_fma_f16 v6, 0xbbb2, v38, v16 op_sel:[0,0,1] op_sel_hi:[0,1,0] neg_lo:[0,1,0] neg_hi:[0,1,0]
	v_pk_mul_f16 v7, 0x2de8, v60 op_sel_hi:[0,1]
	v_pk_add_f16 v8, v9, v8
	v_pk_fma_f16 v9, 0xbbb2, v38, v16 op_sel:[0,0,1] op_sel_hi:[0,1,0]
	v_add_f16_e32 v114, v127, v114
	v_fmac_f16_e32 v135, 0x3964, v59
	v_add_f16_e32 v53, v58, v62
	v_add_f16_e32 v51, v100, v102
	v_fmac_f16_e32 v161, 0x3b29, v59
	v_fma_f16 v128, v60, 0x3722, -v159
	v_add_f16_e32 v125, v140, v125
	v_fmac_f16_e32 v143, 0xba62, v59
	v_add_f16_e32 v132, v174, v132
	v_fmac_f16_e32 v173, 0xbbb2, v59
	v_pk_add_f16 v5, v6, v5
	v_pk_fma_f16 v6, 0x3bf7, v59, v7 op_sel:[0,0,1] op_sel_hi:[0,1,0] neg_lo:[0,1,0] neg_hi:[0,1,0]
	v_pk_add_f16 v8, v9, v8
	v_pk_fma_f16 v7, 0x3bf7, v59, v7 op_sel:[0,0,1] op_sel_hi:[0,1,0]
	v_add_f16_e32 v114, v135, v114
	v_add_f16_e32 v20, v51, v53
	;; [unrolled: 1-line block ×6, first 2 shown]
	v_pk_add_f16 v5, v6, v5
	v_pk_add_f16 v6, v7, v8
	v_add_f16_e32 v139, v163, v139
	v_pack_b32_f16 v11, v11, v20
	v_pack_b32_f16 v15, v112, v114
	;; [unrolled: 1-line block ×4, first 2 shown]
	v_pk_add_f16 v2, v21, v2
	v_pack_b32_f16 v17, v107, v132
	ds_write2_b32 v3, v4, v10 offset0:1 offset1:2
	ds_write2_b32 v3, v11, v15 offset0:3 offset1:4
	ds_write2_b32 v3, v16, v9 offset0:5 offset1:6
	ds_write2_b32 v3, v2, v17 offset1:7
	v_alignbit_b32 v2, v5, v6, 16
	v_alignbit_b32 v4, v6, v5, 16
	v_pack_b32_f16 v5, v109, v108
	v_pack_b32_f16 v6, v139, v105
	;; [unrolled: 1-line block ×4, first 2 shown]
	v_perm_b32 v9, v13, v1, 0x5040100
	v_perm_b32 v10, v24, v0, 0x5040100
	;; [unrolled: 1-line block ×3, first 2 shown]
	ds_write2_b32 v3, v4, v2 offset0:8 offset1:9
	ds_write2_b32 v3, v6, v5 offset0:10 offset1:11
	;; [unrolled: 1-line block ×4, first 2 shown]
	ds_write_b32 v3, v11 offset:64
.LBB0_7:
	s_or_b32 exec_lo, exec_lo, s0
	v_add_lshl_u32 v46, v23, v41, 2
	s_waitcnt lgkmcnt(0)
	s_barrier
	buffer_gl0_inv
	v_cmp_gt_u16_e64 s0, 17, v41
	v_add_nc_u32_e32 v2, 0x400, v46
	ds_read2_b32 v[8:9], v46 offset1:34
	ds_read2_b32 v[6:7], v46 offset0:204 offset1:255
	ds_read2_b32 v[10:11], v46 offset0:68 offset1:102
	;; [unrolled: 1-line block ×6, first 2 shown]
	s_and_saveexec_b32 s1, s0
	s_cbranch_execz .LBB0_9
; %bb.8:
	v_add_nc_u32_e32 v0, 0x3b8, v46
	ds_read2_b32 v[0:1], v0 offset1:255
	s_waitcnt lgkmcnt(0)
	v_lshrrev_b32_e32 v24, 16, v0
	v_lshrrev_b32_e32 v13, 16, v1
.LBB0_9:
	s_or_b32 exec_lo, exec_lo, s1
	v_add_co_u32 v2, s1, 0x44, v41
	v_add_co_u32 v4, s4, v41, 34
	v_add_co_ci_u32_e64 v3, null, 0, 0, s1
	v_and_b32_e32 v26, 0xff, v2
	v_and_b32_e32 v25, 0xff, v4
	v_add_nc_u16 v47, v41, 0xcc
	v_add_nc_u32_e32 v49, 0xee, v41
	v_mov_b32_e32 v50, 0xf0f1
	v_mul_lo_u16 v27, 0xf1, v26
	v_mul_lo_u16 v25, 0xf1, v25
	v_add_co_u32 v26, s1, 0xffffffef, v41
	v_add_co_ci_u32_e64 v28, null, 0, -1, s1
	v_lshrrev_b16 v33, 12, v25
	v_cndmask_b32_e64 v30, v26, v41, s0
	v_lshrrev_b16 v34, 12, v27
	v_cndmask_b32_e64 v31, v28, 0, s0
	v_add_nc_u16 v25, v41, 0x66
	v_mul_lo_u16 v26, v33, 17
	v_and_b32_e32 v52, 0xff, v47
	v_mul_lo_u16 v32, v34, 17
	v_lshlrev_b64 v[28:29], 2, v[30:31]
	v_and_b32_e32 v38, 0xff, v25
	v_sub_nc_u16 v36, v4, v26
	v_add_nc_u16 v26, v41, 0x88
	v_sub_nc_u16 v37, v2, v32
	v_mul_u32_u24_sdwa v50, v49, v50 dst_sel:DWORD dst_unused:UNUSED_PAD src0_sel:WORD_0 src1_sel:DWORD
	v_add_co_u32 v31, s1, s2, v28
	v_add_co_ci_u32_e64 v32, s1, s3, v29, s1
	v_and_b32_e32 v28, 0xff, v26
	v_mul_lo_u16 v29, 0xf1, v38
	v_add_nc_u16 v38, v41, 0xaa
	v_mul_lo_u16 v52, 0xf1, v52
	v_lshrrev_b32_e32 v50, 20, v50
	v_mul_lo_u16 v28, 0xf1, v28
	v_lshrrev_b16 v57, 12, v29
	v_and_b32_e32 v51, 0xff, v38
	global_load_dword v55, v[31:32], off
	v_lshrrev_b16 v31, 12, v52
	v_lshrrev_b16 v58, 12, v28
	v_mul_lo_u16 v53, v57, 17
	v_mul_lo_u16 v51, 0xf1, v51
	;; [unrolled: 1-line block ×3, first 2 shown]
	v_mov_b32_e32 v35, 2
	v_mul_lo_u16 v54, v58, 17
	v_sub_nc_u16 v32, v25, v53
	v_lshrrev_b16 v59, 12, v51
	v_mul_lo_u16 v52, v31, 17
	v_sub_nc_u16 v49, v49, v50
	v_sub_nc_u16 v60, v26, v54
	v_lshlrev_b32_sdwa v44, v35, v36 dst_sel:DWORD dst_unused:UNUSED_PAD src0_sel:DWORD src1_sel:BYTE_0
	v_mul_lo_u16 v51, v59, 17
	v_lshlrev_b32_sdwa v48, v35, v37 dst_sel:DWORD dst_unused:UNUSED_PAD src0_sel:DWORD src1_sel:BYTE_0
	v_lshlrev_b32_sdwa v54, v35, v32 dst_sel:DWORD dst_unused:UNUSED_PAD src0_sel:DWORD src1_sel:BYTE_0
	;; [unrolled: 1-line block ×3, first 2 shown]
	v_sub_nc_u16 v61, v47, v52
	v_sub_nc_u16 v38, v38, v51
	v_and_b32_e32 v47, 0xffff, v49
	s_clause 0x2
	global_load_dword v56, v44, s[2:3]
	global_load_dword v53, v48, s[2:3]
	;; [unrolled: 1-line block ×3, first 2 shown]
	v_lshlrev_b32_sdwa v44, v35, v38 dst_sel:DWORD dst_unused:UNUSED_PAD src0_sel:DWORD src1_sel:BYTE_0
	global_load_dword v52, v54, s[2:3]
	v_lshlrev_b32_sdwa v35, v35, v61 dst_sel:DWORD dst_unused:UNUSED_PAD src0_sel:DWORD src1_sel:BYTE_0
	v_lshlrev_b32_e32 v48, 2, v47
	s_clause 0x2
	global_load_dword v51, v44, s[2:3]
	global_load_dword v49, v35, s[2:3]
	;; [unrolled: 1-line block ×3, first 2 shown]
	v_cmp_lt_u16_e64 s1, 16, v41
	v_mov_b32_e32 v62, 34
	s_waitcnt lgkmcnt(5)
	v_lshrrev_b32_e32 v44, 16, v7
	v_mad_u16 v33, v33, 34, v36
	v_lshrrev_b32_e32 v35, 16, v8
	v_cndmask_b32_e64 v54, 0, 34, s1
	v_mul_u32_u24_sdwa v31, v31, v62 dst_sel:DWORD dst_unused:UNUSED_PAD src0_sel:WORD_0 src1_sel:DWORD
	s_waitcnt lgkmcnt(2)
	v_lshrrev_b32_e32 v64, 16, v21
	v_lshrrev_b32_e32 v66, 16, v22
	v_and_b32_e32 v33, 0xff, v33
	v_add_nc_u32_e32 v30, v30, v54
	v_add_nc_u32_sdwa v31, v31, v61 dst_sel:DWORD dst_unused:UNUSED_PAD src0_sel:DWORD src1_sel:BYTE_0
	s_waitcnt lgkmcnt(1)
	v_lshrrev_b32_e32 v68, 16, v19
	v_lshrrev_b32_e32 v70, 16, v20
	s_waitcnt lgkmcnt(0)
	v_lshrrev_b32_e32 v72, 16, v17
	v_add_lshl_u32 v54, v23, v30, 2
	v_mul_u32_u24_sdwa v30, v34, v62 dst_sel:DWORD dst_unused:UNUSED_PAD src0_sel:WORD_0 src1_sel:DWORD
	v_mul_u32_u24_sdwa v34, v57, v62 dst_sel:DWORD dst_unused:UNUSED_PAD src0_sel:WORD_0 src1_sel:DWORD
	;; [unrolled: 1-line block ×4, first 2 shown]
	v_lshrrev_b32_e32 v74, 16, v18
	v_add_nc_u32_sdwa v30, v30, v37 dst_sel:DWORD dst_unused:UNUSED_PAD src0_sel:DWORD src1_sel:BYTE_0
	v_add_nc_u32_sdwa v32, v34, v32 dst_sel:DWORD dst_unused:UNUSED_PAD src0_sel:DWORD src1_sel:BYTE_0
	;; [unrolled: 1-line block ×4, first 2 shown]
	v_add_lshl_u32 v61, v23, v31, 2
	v_add_lshl_u32 v57, v23, v30, 2
	v_add_lshl_u32 v58, v23, v32, 2
	v_add_lshl_u32 v59, v23, v34, 2
	v_add_lshl_u32 v62, v23, v33, 2
	v_add_lshl_u32 v60, v23, v36, 2
	v_add_co_ci_u32_e64 v5, null, 0, 0, s4
	s_load_dwordx4 s[4:7], s[6:7], 0x0
	v_lshrrev_b32_e32 v63, 16, v9
	v_lshrrev_b32_e32 v65, 16, v10
	v_lshrrev_b32_e32 v67, 16, v11
	v_lshrrev_b32_e32 v69, 16, v15
	v_lshrrev_b32_e32 v71, 16, v16
	v_lshrrev_b32_e32 v73, 16, v6
	s_waitcnt vmcnt(0) lgkmcnt(0)
	s_barrier
	buffer_gl0_inv
	v_mul_f16_sdwa v37, v44, v55 dst_sel:DWORD dst_unused:UNUSED_PAD src0_sel:DWORD src1_sel:WORD_1
	v_mul_f16_sdwa v38, v7, v55 dst_sel:DWORD dst_unused:UNUSED_PAD src0_sel:DWORD src1_sel:WORD_1
	v_fma_f16 v7, v7, v55, -v37
	v_fmac_f16_e32 v38, v44, v55
	v_sub_f16_e32 v7, v8, v7
	v_sub_f16_e32 v30, v35, v38
	v_fma_f16 v8, v8, 2.0, -v7
	v_fma_f16 v35, v35, 2.0, -v30
	v_pack_b32_f16 v7, v7, v30
	v_mul_f16_sdwa v31, v64, v56 dst_sel:DWORD dst_unused:UNUSED_PAD src0_sel:DWORD src1_sel:WORD_1
	v_mul_f16_sdwa v32, v21, v56 dst_sel:DWORD dst_unused:UNUSED_PAD src0_sel:DWORD src1_sel:WORD_1
	;; [unrolled: 1-line block ×13, first 2 shown]
	v_fma_f16 v21, v21, v56, -v31
	v_fmac_f16_e32 v32, v64, v56
	v_fma_f16 v22, v22, v53, -v33
	v_fmac_f16_e32 v34, v66, v53
	;; [unrolled: 2-line block ×5, first 2 shown]
	v_mul_f16_sdwa v80, v1, v48 dst_sel:DWORD dst_unused:UNUSED_PAD src0_sel:DWORD src1_sel:WORD_1
	v_fma_f16 v18, v18, v49, -v77
	v_fmac_f16_e32 v78, v74, v49
	v_fma_f16 v1, v1, v48, -v79
	v_pack_b32_f16 v8, v8, v35
	v_sub_f16_e32 v21, v9, v21
	v_sub_f16_e32 v30, v63, v32
	;; [unrolled: 1-line block ×10, first 2 shown]
	v_fmac_f16_e32 v80, v13, v48
	v_sub_f16_e32 v18, v6, v18
	v_sub_f16_e32 v35, v73, v78
	;; [unrolled: 1-line block ×3, first 2 shown]
	ds_write2_b32 v54, v8, v7 offset1:17
	v_fma_f16 v1, v9, 2.0, -v21
	v_fma_f16 v7, v63, 2.0, -v30
	;; [unrolled: 1-line block ×10, first 2 shown]
	v_sub_f16_e32 v66, v24, v80
	v_fma_f16 v6, v6, 2.0, -v18
	v_fma_f16 v38, v73, 2.0, -v35
	v_pack_b32_f16 v21, v21, v30
	v_pack_b32_f16 v1, v1, v7
	;; [unrolled: 1-line block ×12, first 2 shown]
	ds_write2_b32 v62, v1, v21 offset1:17
	ds_write2_b32 v57, v7, v22 offset1:17
	;; [unrolled: 1-line block ×6, first 2 shown]
	s_and_saveexec_b32 s1, s0
	s_cbranch_execz .LBB0_11
; %bb.10:
	v_fma_f16 v0, v0, 2.0, -v13
	v_fma_f16 v1, v24, 2.0, -v66
	v_add_lshl_u32 v6, v23, v47, 2
	v_perm_b32 v7, v66, v13, 0x5040100
	v_pack_b32_f16 v0, v0, v1
	v_add_nc_u32_e32 v1, 0x400, v6
	ds_write2_b32 v1, v0, v7 offset0:220 offset1:237
.LBB0_11:
	s_or_b32 exec_lo, exec_lo, s1
	v_lshlrev_b32_e32 v0, 3, v41
	s_waitcnt lgkmcnt(0)
	s_barrier
	buffer_gl0_inv
	v_lshrrev_b16 v1, 13, v29
	global_load_dwordx2 v[15:16], v0, s[2:3] offset:68
	v_lshrrev_b16 v0, 13, v27
	v_lshrrev_b16 v6, 13, v28
	v_add_nc_u32_e32 v35, 0x400, v46
	v_mul_lo_u16 v1, v1, 34
	v_lshlrev_b64 v[4:5], 4, v[4:5]
	v_mul_lo_u16 v0, v0, 34
	v_mul_lo_u16 v6, v6, 34
	v_lshlrev_b32_e32 v34, 4, v41
	v_sub_nc_u16 v1, v25, v1
	v_sub_nc_u16 v0, v2, v0
	v_lshlrev_b64 v[2:3], 4, v[2:3]
	v_and_b32_e32 v31, 0xff, v1
	v_and_b32_e32 v30, 0xff, v0
	v_sub_nc_u16 v0, v26, v6
	v_add_lshl_u32 v64, v23, v31, 2
	v_lshlrev_b32_e32 v1, 3, v30
	v_and_b32_e32 v32, 0xff, v0
	v_lshlrev_b32_e32 v0, 3, v31
	v_add_lshl_u32 v65, v23, v30, 2
	v_add_nc_u32_e32 v74, 0x400, v64
	global_load_dwordx2 v[21:22], v1, s[2:3] offset:68
	v_lshlrev_b32_e32 v1, 3, v32
	v_add_lshl_u32 v63, v23, v32, 2
	s_clause 0x1
	global_load_dwordx2 v[19:20], v0, s[2:3] offset:68
	global_load_dwordx2 v[17:18], v1, s[2:3] offset:68
	ds_read2_b32 v[0:1], v46 offset1:34
	ds_read2_b32 v[6:7], v46 offset0:136 offset1:170
	ds_read2_b32 v[8:9], v46 offset0:204 offset1:238
	;; [unrolled: 1-line block ×3, first 2 shown]
	ds_read_b32 v33, v46 offset:1904
	ds_read2_b32 v[24:25], v35 offset0:84 offset1:118
	ds_read2_b32 v[26:27], v35 offset0:152 offset1:186
	;; [unrolled: 1-line block ×3, first 2 shown]
	s_waitcnt vmcnt(0) lgkmcnt(0)
	s_barrier
	buffer_gl0_inv
	v_add_nc_u32_e32 v75, 0x400, v63
	v_lshrrev_b32_e32 v36, 16, v0
	v_lshrrev_b32_e32 v37, 16, v7
	;; [unrolled: 1-line block ×15, first 2 shown]
	v_mul_f16_sdwa v76, v37, v15 dst_sel:DWORD dst_unused:UNUSED_PAD src0_sel:DWORD src1_sel:WORD_1
	v_mul_f16_sdwa v77, v7, v15 dst_sel:DWORD dst_unused:UNUSED_PAD src0_sel:DWORD src1_sel:WORD_1
	;; [unrolled: 1-line block ×8, first 2 shown]
	v_fma_f16 v7, v7, v15, -v76
	v_fmac_f16_e32 v77, v37, v15
	v_fma_f16 v24, v24, v16, -v78
	v_fmac_f16_e32 v79, v23, v16
	;; [unrolled: 2-line block ×4, first 2 shown]
	v_add_f16_e32 v25, v0, v7
	v_add_f16_e32 v30, v7, v24
	v_sub_f16_e32 v37, v77, v79
	v_add_f16_e32 v44, v36, v77
	v_add_f16_e32 v76, v77, v79
	;; [unrolled: 1-line block ×4, first 2 shown]
	v_sub_f16_e32 v80, v81, v83
	v_add_f16_e32 v82, v38, v81
	v_add_f16_e32 v81, v81, v83
	v_sub_f16_e32 v7, v7, v24
	v_sub_f16_e32 v8, v8, v23
	v_add_f16_e32 v24, v25, v24
	v_fma_f16 v0, -0.5, v30, v0
	v_add_f16_e32 v25, v44, v79
	v_fmac_f16_e32 v36, -0.5, v76
	v_add_f16_e32 v23, v77, v23
	v_fmac_f16_e32 v1, -0.5, v78
	v_fmac_f16_e32 v38, -0.5, v81
	v_mul_f16_sdwa v44, v68, v21 dst_sel:DWORD dst_unused:UNUSED_PAD src0_sel:DWORD src1_sel:WORD_1
	v_mul_f16_sdwa v76, v9, v21 dst_sel:DWORD dst_unused:UNUSED_PAD src0_sel:DWORD src1_sel:WORD_1
	v_mul_f16_sdwa v77, v31, v22 dst_sel:DWORD dst_unused:UNUSED_PAD src0_sel:DWORD src1_sel:WORD_1
	v_mul_f16_sdwa v78, v26, v22 dst_sel:DWORD dst_unused:UNUSED_PAD src0_sel:DWORD src1_sel:WORD_1
	v_add_f16_e32 v30, v82, v83
	v_mul_f16_sdwa v79, v32, v19 dst_sel:DWORD dst_unused:UNUSED_PAD src0_sel:DWORD src1_sel:WORD_1
	v_mul_f16_sdwa v81, v28, v19 dst_sel:DWORD dst_unused:UNUSED_PAD src0_sel:DWORD src1_sel:WORD_1
	;; [unrolled: 1-line block ×8, first 2 shown]
	v_fmamk_f16 v88, v37, 0x3aee, v0
	v_fmac_f16_e32 v0, 0xbaee, v37
	v_fmamk_f16 v37, v7, 0xbaee, v36
	v_fmac_f16_e32 v36, 0x3aee, v7
	v_fmamk_f16 v7, v80, 0x3aee, v1
	v_fmac_f16_e32 v1, 0xbaee, v80
	v_fmamk_f16 v80, v8, 0xbaee, v38
	v_fmac_f16_e32 v38, 0x3aee, v8
	v_pack_b32_f16 v8, v24, v25
	v_fma_f16 v9, v9, v21, -v44
	v_fmac_f16_e32 v76, v68, v21
	v_fma_f16 v24, v26, v22, -v77
	v_fmac_f16_e32 v78, v31, v22
	;; [unrolled: 2-line block ×6, first 2 shown]
	v_pack_b32_f16 v29, v88, v37
	v_pack_b32_f16 v0, v0, v36
	v_add_f16_e32 v31, v9, v24
	v_add_f16_e32 v36, v76, v78
	v_pack_b32_f16 v23, v23, v30
	v_pack_b32_f16 v7, v7, v80
	;; [unrolled: 1-line block ×3, first 2 shown]
	v_add_f16_e32 v38, v25, v26
	v_add_f16_e32 v71, v81, v83
	;; [unrolled: 1-line block ×5, first 2 shown]
	v_sub_f16_e32 v32, v76, v78
	v_add_f16_e32 v33, v67, v76
	v_sub_f16_e32 v9, v9, v24
	v_add_f16_e32 v37, v11, v25
	v_add_f16_e32 v68, v69, v81
	;; [unrolled: 1-line block ×3, first 2 shown]
	ds_write2_b32 v46, v8, v29 offset1:34
	ds_write2_b32 v46, v0, v23 offset0:68 offset1:102
	ds_write2_b32 v46, v7, v1 offset0:136 offset1:170
	v_fma_f16 v1, -0.5, v31, v10
	v_fmac_f16_e32 v67, -0.5, v36
	v_sub_f16_e32 v44, v81, v83
	v_sub_f16_e32 v25, v25, v26
	v_fmac_f16_e32 v11, -0.5, v38
	v_fmac_f16_e32 v69, -0.5, v71
	v_sub_f16_e32 v76, v85, v87
	v_add_f16_e32 v77, v70, v85
	v_sub_f16_e32 v27, v27, v28
	v_fmac_f16_e32 v6, -0.5, v73
	v_fmac_f16_e32 v70, -0.5, v79
	v_add_f16_e32 v0, v30, v24
	v_add_f16_e32 v7, v33, v78
	;; [unrolled: 1-line block ×5, first 2 shown]
	v_fmamk_f16 v26, v32, 0x3aee, v1
	v_fmamk_f16 v28, v9, 0xbaee, v67
	v_fmac_f16_e32 v1, 0xbaee, v32
	v_fmac_f16_e32 v67, 0x3aee, v9
	v_fmamk_f16 v9, v44, 0x3aee, v11
	v_fmamk_f16 v29, v25, 0xbaee, v69
	v_fmac_f16_e32 v11, 0xbaee, v44
	v_fmac_f16_e32 v69, 0x3aee, v25
	v_add_f16_e32 v24, v77, v87
	v_fmamk_f16 v25, v76, 0x3aee, v6
	v_fmamk_f16 v30, v27, 0xbaee, v70
	v_fmac_f16_e32 v6, 0xbaee, v76
	v_fmac_f16_e32 v70, 0x3aee, v27
	v_pack_b32_f16 v0, v0, v7
	v_pack_b32_f16 v7, v8, v10
	;; [unrolled: 1-line block ×9, first 2 shown]
	ds_write2_b32 v65, v0, v10 offset0:204 offset1:238
	ds_write_b32 v65, v1 offset:1088
	ds_write2_b32 v74, v7, v9 offset0:50 offset1:84
	ds_write_b32 v64, v11 offset:1496
	ds_write2_b32 v75, v8, v23 offset0:152 offset1:186
	ds_write_b32 v63, v6 offset:1904
	v_add_co_u32 v0, s1, s2, v4
	v_add_co_ci_u32_e64 v1, s1, s3, v5, s1
	s_waitcnt lgkmcnt(0)
	s_barrier
	buffer_gl0_inv
	s_clause 0x1
	global_load_dwordx4 v[8:11], v34, s[2:3] offset:340
	global_load_dwordx4 v[4:7], v[0:1], off offset:340
	v_add_co_u32 v0, s1, s2, v2
	v_add_co_ci_u32_e64 v1, s1, s3, v3, s1
	v_lshl_add_u32 v44, v41, 2, v42
	global_load_dwordx4 v[0:3], v[0:1], off offset:340
	ds_read2_b32 v[25:26], v46 offset1:34
	ds_read2_b32 v[23:24], v46 offset0:68 offset1:102
	ds_read2_b32 v[27:28], v46 offset0:204 offset1:238
	;; [unrolled: 1-line block ×6, first 2 shown]
	ds_read_b32 v38, v46 offset:1904
	v_add_nc_u32_e32 v37, 0x400, v44
	v_add_nc_u32_e32 v83, 0x200, v44
	s_waitcnt lgkmcnt(7)
	v_lshrrev_b32_e32 v69, 16, v25
	s_waitcnt lgkmcnt(6)
	v_lshrrev_b32_e32 v70, 16, v24
	;; [unrolled: 2-line block ×5, first 2 shown]
	v_lshrrev_b32_e32 v75, 16, v28
	s_waitcnt lgkmcnt(1)
	v_lshrrev_b32_e32 v76, 16, v35
	v_lshrrev_b32_e32 v74, 16, v33
	;; [unrolled: 1-line block ×6, first 2 shown]
	s_waitcnt lgkmcnt(0)
	v_lshrrev_b32_e32 v81, 16, v38
	v_lshrrev_b32_e32 v68, 16, v26
	;; [unrolled: 1-line block ×3, first 2 shown]
	s_waitcnt vmcnt(2)
	v_mul_f16_sdwa v82, v70, v8 dst_sel:DWORD dst_unused:UNUSED_PAD src0_sel:DWORD src1_sel:WORD_1
	v_mul_f16_sdwa v84, v24, v8 dst_sel:DWORD dst_unused:UNUSED_PAD src0_sel:DWORD src1_sel:WORD_1
	;; [unrolled: 1-line block ×7, first 2 shown]
	s_waitcnt vmcnt(1)
	v_mul_f16_sdwa v93, v75, v5 dst_sel:DWORD dst_unused:UNUSED_PAD src0_sel:DWORD src1_sel:WORD_1
	v_mul_f16_sdwa v94, v28, v5 dst_sel:DWORD dst_unused:UNUSED_PAD src0_sel:DWORD src1_sel:WORD_1
	;; [unrolled: 1-line block ×9, first 2 shown]
	s_waitcnt vmcnt(0)
	v_mul_f16_sdwa v99, v78, v0 dst_sel:DWORD dst_unused:UNUSED_PAD src0_sel:DWORD src1_sel:WORD_1
	v_mul_f16_sdwa v100, v34, v0 dst_sel:DWORD dst_unused:UNUSED_PAD src0_sel:DWORD src1_sel:WORD_1
	;; [unrolled: 1-line block ×8, first 2 shown]
	v_fma_f16 v24, v24, v8, -v82
	v_fmac_f16_e32 v84, v70, v8
	v_fma_f16 v27, v27, v9, -v85
	v_fmac_f16_e32 v86, v71, v9
	;; [unrolled: 2-line block ×3, first 2 shown]
	v_fma_f16 v82, v31, v11, -v89
	v_fma_f16 v28, v28, v5, -v93
	v_fmac_f16_e32 v94, v75, v5
	v_fma_f16 v31, v35, v6, -v95
	v_fmac_f16_e32 v96, v76, v6
	v_fmac_f16_e32 v90, v73, v11
	v_fma_f16 v30, v33, v4, -v91
	v_fmac_f16_e32 v92, v74, v4
	v_fma_f16 v35, v32, v7, -v97
	;; [unrolled: 2-line block ×6, first 2 shown]
	v_fmac_f16_e32 v106, v81, v3
	v_add_f16_e32 v29, v25, v24
	v_add_f16_e32 v34, v27, v70
	;; [unrolled: 1-line block ×3, first 2 shown]
	v_sub_f16_e32 v74, v27, v24
	v_sub_f16_e32 v75, v70, v82
	v_add_f16_e32 v78, v69, v84
	v_add_f16_e32 v79, v86, v88
	;; [unrolled: 1-line block ×7, first 2 shown]
	v_sub_f16_e32 v36, v24, v27
	v_sub_f16_e32 v71, v82, v70
	;; [unrolled: 1-line block ×5, first 2 shown]
	v_add_f16_e32 v91, v26, v30
	v_add_f16_e32 v108, v68, v92
	;; [unrolled: 1-line block ×8, first 2 shown]
	v_sub_f16_e32 v76, v84, v90
	v_sub_f16_e32 v77, v86, v88
	;; [unrolled: 1-line block ×7, first 2 shown]
	v_add_f16_e32 v132, v29, v27
	v_fma_f16 v30, -0.5, v34, v25
	v_fma_f16 v29, -0.5, v72, v25
	v_add_f16_e32 v134, v74, v75
	v_add_f16_e32 v25, v78, v86
	v_fma_f16 v75, -0.5, v79, v69
	v_fma_f16 v27, -0.5, v93, v26
	;; [unrolled: 1-line block ×3, first 2 shown]
	v_sub_f16_e32 v97, v94, v96
	v_sub_f16_e32 v111, v28, v31
	v_fmac_f16_e32 v69, -0.5, v81
	v_fmac_f16_e32 v26, -0.5, v103
	;; [unrolled: 1-line block ×3, first 2 shown]
	v_sub_f16_e32 v84, v86, v84
	v_sub_f16_e32 v112, v92, v94
	;; [unrolled: 1-line block ×10, first 2 shown]
	v_add_f16_e32 v133, v36, v71
	v_add_f16_e32 v86, v24, v80
	;; [unrolled: 1-line block ×5, first 2 shown]
	v_fma_f16 v24, -0.5, v117, v23
	v_add_f16_e32 v102, v125, v102
	v_fma_f16 v71, -0.5, v126, v67
	v_sub_f16_e32 v128, v33, v73
	v_sub_f16_e32 v129, v106, v104
	v_fmac_f16_e32 v23, -0.5, v122
	v_fmac_f16_e32 v67, -0.5, v130
	v_sub_f16_e32 v89, v88, v90
	v_sub_f16_e32 v101, v35, v31
	;; [unrolled: 1-line block ×3, first 2 shown]
	v_add_f16_e32 v70, v132, v70
	v_fmamk_f16 v33, v76, 0x3b9c, v30
	v_fmamk_f16 v34, v77, 0xbb9c, v29
	v_fmac_f16_e32 v29, 0x3b9c, v77
	v_add_f16_e32 v88, v25, v88
	v_fmamk_f16 v81, v85, 0xbb9c, v75
	v_fmamk_f16 v36, v95, 0x3b9c, v27
	;; [unrolled: 1-line block ×3, first 2 shown]
	v_sub_f16_e32 v107, v31, v35
	v_sub_f16_e32 v115, v96, v98
	v_fmamk_f16 v80, v87, 0x3b9c, v69
	v_fmac_f16_e32 v69, 0xbb9c, v87
	v_fmamk_f16 v25, v97, 0xbb9c, v26
	v_fmac_f16_e32 v26, 0x3b9c, v97
	;; [unrolled: 2-line block ×3, first 2 shown]
	v_sub_f16_e32 v121, v38, v73
	v_fmac_f16_e32 v30, 0xbb9c, v76
	v_add_f16_e32 v28, v28, v31
	v_add_f16_e32 v96, v74, v96
	;; [unrolled: 1-line block ×3, first 2 shown]
	v_fmamk_f16 v31, v118, 0x3b9c, v24
	v_add_f16_e32 v102, v102, v104
	v_fmamk_f16 v74, v127, 0xbb9c, v71
	v_sub_f16_e32 v124, v73, v38
	v_sub_f16_e32 v131, v104, v106
	v_add_f16_e32 v103, v32, v129
	v_fmamk_f16 v32, v119, 0xbb9c, v23
	v_fmamk_f16 v73, v128, 0x3b9c, v67
	v_fmac_f16_e32 v75, 0x3b9c, v85
	v_fmac_f16_e32 v23, 0x3b9c, v119
	;; [unrolled: 1-line block ×3, first 2 shown]
	v_add_f16_e32 v84, v84, v89
	v_add_f16_e32 v89, v99, v101
	;; [unrolled: 1-line block ×3, first 2 shown]
	v_fmac_f16_e32 v27, 0xbb9c, v95
	v_fmac_f16_e32 v72, 0x3b9c, v110
	;; [unrolled: 1-line block ×4, first 2 shown]
	v_add_f16_e32 v70, v70, v82
	v_fmac_f16_e32 v33, 0x38b4, v77
	v_fmac_f16_e32 v34, 0x38b4, v76
	;; [unrolled: 1-line block ×3, first 2 shown]
	v_add_f16_e32 v76, v88, v90
	v_fmac_f16_e32 v81, 0xb8b4, v87
	v_fmac_f16_e32 v36, 0x38b4, v97
	;; [unrolled: 1-line block ×3, first 2 shown]
	v_add_f16_e32 v91, v105, v107
	v_add_f16_e32 v92, v92, v115
	v_fmac_f16_e32 v69, 0x38b4, v85
	v_fmac_f16_e32 v26, 0xb8b4, v95
	;; [unrolled: 1-line block ×3, first 2 shown]
	v_add_f16_e32 v99, v120, v121
	v_fmac_f16_e32 v30, 0xb8b4, v77
	v_fmac_f16_e32 v80, 0xb8b4, v85
	v_add_f16_e32 v35, v28, v35
	v_add_f16_e32 v82, v96, v98
	v_add_f16_e32 v28, v94, v38
	v_fmac_f16_e32 v31, 0x38b4, v119
	v_add_f16_e32 v77, v102, v106
	v_fmac_f16_e32 v74, 0xb8b4, v128
	v_add_f16_e32 v101, v123, v124
	v_add_f16_e32 v100, v100, v131
	v_fmac_f16_e32 v25, 0x38b4, v95
	v_fmac_f16_e32 v78, 0xb8b4, v110
	v_fmac_f16_e32 v32, 0x38b4, v118
	v_fmac_f16_e32 v73, 0xb8b4, v127
	v_fmac_f16_e32 v75, 0x38b4, v87
	v_fmac_f16_e32 v23, 0xb8b4, v118
	v_fmac_f16_e32 v67, 0x38b4, v127
	v_fmac_f16_e32 v27, 0xb8b4, v97
	v_fmac_f16_e32 v72, 0x38b4, v111
	v_fmac_f16_e32 v24, 0xb8b4, v119
	v_fmac_f16_e32 v71, 0x38b4, v128
	v_fmac_f16_e32 v33, 0x34f2, v133
	v_fmac_f16_e32 v81, 0x34f2, v86
	v_fmac_f16_e32 v36, 0x34f2, v89
	v_fmac_f16_e32 v79, 0x34f2, v93
	v_pack_b32_f16 v38, v70, v76
	v_fmac_f16_e32 v29, 0x34f2, v134
	v_fmac_f16_e32 v69, 0x34f2, v84
	;; [unrolled: 1-line block ×8, first 2 shown]
	v_pack_b32_f16 v84, v35, v82
	v_pack_b32_f16 v85, v28, v77
	v_fmac_f16_e32 v25, 0x34f2, v91
	v_fmac_f16_e32 v78, 0x34f2, v92
	v_fmac_f16_e32 v32, 0x34f2, v101
	v_fmac_f16_e32 v73, 0x34f2, v100
	v_fmac_f16_e32 v30, 0x34f2, v133
	v_fmac_f16_e32 v75, 0x34f2, v86
	v_fmac_f16_e32 v23, 0x34f2, v101
	v_fmac_f16_e32 v67, 0x34f2, v100
	v_fmac_f16_e32 v27, 0x34f2, v89
	v_fmac_f16_e32 v72, 0x34f2, v93
	v_fmac_f16_e32 v24, 0x34f2, v99
	v_fmac_f16_e32 v71, 0x34f2, v103
	ds_write_b32 v44, v38
	v_pack_b32_f16 v38, v33, v81
	v_pack_b32_f16 v89, v36, v79
	;; [unrolled: 1-line block ×5, first 2 shown]
	ds_write2_b32 v44, v84, v85 offset0:34 offset1:68
	v_pack_b32_f16 v84, v31, v74
	v_pack_b32_f16 v90, v25, v78
	;; [unrolled: 1-line block ×7, first 2 shown]
	ds_write2_b32 v44, v38, v89 offset0:102 offset1:136
	ds_write2_b32 v37, v87, v91 offset0:50 offset1:84
	;; [unrolled: 1-line block ×6, first 2 shown]
	s_waitcnt lgkmcnt(0)
	s_barrier
	buffer_gl0_inv
	s_and_saveexec_b32 s1, vcc_lo
	s_cbranch_execz .LBB0_13
; %bb.12:
	global_load_dword v38, v40, s[12:13] offset:2040
	s_add_u32 s2, s12, 0x7f8
	s_addc_u32 s3, s13, 0
	s_clause 0xf
	global_load_dword v99, v40, s[2:3] offset:120
	global_load_dword v100, v40, s[2:3] offset:240
	;; [unrolled: 1-line block ×16, first 2 shown]
	ds_read_b32 v83, v44
	s_waitcnt lgkmcnt(0)
	v_lshrrev_b32_e32 v84, 16, v83
	s_waitcnt vmcnt(16)
	v_mul_f16_sdwa v85, v84, v38 dst_sel:DWORD dst_unused:UNUSED_PAD src0_sel:DWORD src1_sel:WORD_1
	v_mul_f16_sdwa v86, v83, v38 dst_sel:DWORD dst_unused:UNUSED_PAD src0_sel:DWORD src1_sel:WORD_1
	v_fma_f16 v83, v83, v38, -v85
	v_fmac_f16_e32 v86, v84, v38
	v_pack_b32_f16 v38, v83, v86
	ds_write_b32 v44, v38
	ds_read2_b32 v[83:84], v44 offset0:30 offset1:60
	ds_read2_b32 v[85:86], v44 offset0:90 offset1:120
	;; [unrolled: 1-line block ×8, first 2 shown]
	s_waitcnt lgkmcnt(7)
	v_lshrrev_b32_e32 v38, 16, v83
	s_waitcnt vmcnt(15)
	v_mul_f16_sdwa v115, v83, v99 dst_sel:DWORD dst_unused:UNUSED_PAD src0_sel:DWORD src1_sel:WORD_1
	v_lshrrev_b32_e32 v116, 16, v84
	s_waitcnt vmcnt(14)
	v_mul_f16_sdwa v117, v84, v100 dst_sel:DWORD dst_unused:UNUSED_PAD src0_sel:DWORD src1_sel:WORD_1
	s_waitcnt lgkmcnt(6)
	v_lshrrev_b32_e32 v118, 16, v85
	s_waitcnt vmcnt(13)
	v_mul_f16_sdwa v119, v85, v101 dst_sel:DWORD dst_unused:UNUSED_PAD src0_sel:DWORD src1_sel:WORD_1
	v_lshrrev_b32_e32 v120, 16, v86
	s_waitcnt vmcnt(12)
	v_mul_f16_sdwa v121, v86, v102 dst_sel:DWORD dst_unused:UNUSED_PAD src0_sel:DWORD src1_sel:WORD_1
	;; [unrolled: 7-line block ×7, first 2 shown]
	s_waitcnt lgkmcnt(0)
	v_lshrrev_b32_e32 v142, 16, v97
	s_waitcnt vmcnt(1)
	v_mul_f16_sdwa v143, v97, v113 dst_sel:DWORD dst_unused:UNUSED_PAD src0_sel:DWORD src1_sel:WORD_1
	v_lshrrev_b32_e32 v144, 16, v98
	v_mul_f16_sdwa v146, v38, v99 dst_sel:DWORD dst_unused:UNUSED_PAD src0_sel:DWORD src1_sel:WORD_1
	v_fmac_f16_e32 v115, v38, v99
	v_mul_f16_sdwa v38, v116, v100 dst_sel:DWORD dst_unused:UNUSED_PAD src0_sel:DWORD src1_sel:WORD_1
	v_fmac_f16_e32 v117, v116, v100
	;; [unrolled: 2-line block ×9, first 2 shown]
	v_mul_f16_sdwa v130, v132, v108 dst_sel:DWORD dst_unused:UNUSED_PAD src0_sel:DWORD src1_sel:WORD_1
	s_waitcnt vmcnt(0)
	v_mul_f16_sdwa v145, v98, v114 dst_sel:DWORD dst_unused:UNUSED_PAD src0_sel:DWORD src1_sel:WORD_1
	v_fmac_f16_e32 v133, v132, v108
	v_mul_f16_sdwa v132, v134, v109 dst_sel:DWORD dst_unused:UNUSED_PAD src0_sel:DWORD src1_sel:WORD_1
	v_fmac_f16_e32 v135, v134, v109
	;; [unrolled: 2-line block ×6, first 2 shown]
	v_mul_f16_sdwa v142, v144, v114 dst_sel:DWORD dst_unused:UNUSED_PAD src0_sel:DWORD src1_sel:WORD_1
	v_fma_f16 v83, v83, v99, -v146
	v_fma_f16 v38, v84, v100, -v38
	;; [unrolled: 1-line block ×10, first 2 shown]
	v_fmac_f16_e32 v145, v144, v114
	v_fma_f16 v92, v93, v109, -v132
	v_fma_f16 v93, v94, v110, -v134
	;; [unrolled: 1-line block ×6, first 2 shown]
	v_pack_b32_f16 v83, v83, v115
	v_pack_b32_f16 v38, v38, v117
	;; [unrolled: 1-line block ×16, first 2 shown]
	ds_write2_b32 v44, v83, v38 offset0:30 offset1:60
	ds_write2_b32 v44, v84, v85 offset0:90 offset1:120
	;; [unrolled: 1-line block ×8, first 2 shown]
.LBB0_13:
	s_or_b32 exec_lo, exec_lo, s1
	s_waitcnt lgkmcnt(0)
	s_barrier
	buffer_gl0_inv
	s_and_saveexec_b32 s1, vcc_lo
	s_cbranch_execz .LBB0_15
; %bb.14:
	v_add_nc_u32_e32 v13, 0x400, v44
	ds_read_b32 v70, v44
	ds_read2_b32 v[33:34], v44 offset0:30 offset1:60
	ds_read2_b32 v[29:30], v44 offset0:90 offset1:120
	;; [unrolled: 1-line block ×8, first 2 shown]
	s_waitcnt lgkmcnt(5)
	v_lshrrev_b32_e32 v82, 16, v35
	v_lshrrev_b32_e32 v76, 16, v70
	;; [unrolled: 1-line block ×7, first 2 shown]
	s_waitcnt lgkmcnt(4)
	v_lshrrev_b32_e32 v78, 16, v25
	v_lshrrev_b32_e32 v68, 16, v26
	s_waitcnt lgkmcnt(3)
	v_lshrrev_b32_e32 v72, 16, v27
	v_lshrrev_b32_e32 v77, 16, v28
	;; [unrolled: 3-line block ×5, first 2 shown]
.LBB0_15:
	s_or_b32 exec_lo, exec_lo, s1
	v_sub_f16_e32 v98, v81, v45
	v_add_f16_e32 v106, v45, v81
	v_add_f16_e32 v85, v14, v33
	v_sub_f16_e32 v87, v33, v14
	v_add_f16_e32 v107, v66, v80
	v_mul_f16_e32 v109, 0xb964, v98
	v_mul_f16_e32 v114, 0x39e9, v106
	v_sub_f16_e32 v100, v80, v66
	v_add_f16_e32 v86, v13, v34
	v_mul_f16_e32 v124, 0xbb29, v98
	v_fma_f16 v37, v85, 0x39e9, -v109
	v_fmamk_f16 v38, v87, 0xb964, v114
	v_mul_f16_e32 v129, 0x3722, v106
	v_mul_f16_e32 v112, 0xbbf7, v100
	v_sub_f16_e32 v89, v34, v13
	v_mul_f16_e32 v118, 0x2de8, v107
	v_add_f16_e32 v37, v70, v37
	v_add_f16_e32 v38, v76, v38
	v_fma_f16 v83, v85, 0x3722, -v124
	v_fmamk_f16 v84, v87, 0xbb29, v129
	v_fma_f16 v88, v86, 0x2de8, -v112
	v_sub_f16_e32 v97, v69, v71
	v_fmamk_f16 v90, v89, 0xbbf7, v118
	v_mul_f16_e32 v128, 0xba62, v100
	v_mul_f16_e32 v137, 0xb8d2, v107
	v_add_f16_e32 v111, v71, v69
	v_add_f16_e32 v83, v70, v83
	;; [unrolled: 1-line block ×5, first 2 shown]
	v_mul_f16_e32 v113, 0xba62, v97
	v_add_f16_e32 v38, v90, v38
	v_fma_f16 v91, v86, 0xb8d2, -v128
	v_fmamk_f16 v92, v89, 0xba62, v137
	v_sub_f16_e32 v90, v29, v24
	v_mul_f16_e32 v122, 0xb8d2, v111
	v_sub_f16_e32 v102, v75, v67
	v_fma_f16 v93, v88, 0xb8d2, -v113
	v_add_f16_e32 v83, v91, v83
	v_add_f16_e32 v84, v92, v84
	v_fmamk_f16 v92, v90, 0xba62, v122
	v_mul_f16_e32 v135, 0x31e1, v97
	v_mul_f16_e32 v139, 0xbbdd, v111
	v_add_f16_e32 v91, v23, v30
	v_mul_f16_e32 v117, 0xb1e1, v102
	v_add_f16_e32 v115, v67, v75
	v_add_f16_e32 v37, v93, v37
	;; [unrolled: 1-line block ×3, first 2 shown]
	v_fma_f16 v93, v88, 0xbbdd, -v135
	v_fmamk_f16 v94, v90, 0x31e1, v139
	v_fma_f16 v95, v91, 0xbbdd, -v117
	v_sub_f16_e32 v92, v30, v23
	v_mul_f16_e32 v126, 0xbbdd, v115
	v_sub_f16_e32 v105, v82, v73
	v_mul_f16_e32 v141, 0x3bb2, v102
	v_mul_f16_e32 v142, 0xb461, v115
	v_add_f16_e32 v120, v73, v82
	v_add_f16_e32 v83, v93, v83
	v_add_f16_e32 v84, v94, v84
	v_add_f16_e32 v37, v95, v37
	v_fmamk_f16 v95, v92, 0xb1e1, v126
	v_add_f16_e32 v93, v32, v35
	v_mul_f16_e32 v121, 0x3836, v105
	v_fma_f16 v96, v91, 0xb461, -v141
	v_fmamk_f16 v99, v92, 0x3bb2, v142
	v_sub_f16_e32 v94, v35, v32
	v_mul_f16_e32 v130, 0xbacd, v120
	v_add_f16_e32 v123, v74, v79
	v_fma_f16 v101, v93, 0xbacd, -v121
	v_add_f16_e32 v38, v95, v38
	v_add_f16_e32 v83, v96, v83
	v_add_f16_e32 v84, v99, v84
	v_fmamk_f16 v99, v94, 0x3836, v130
	v_sub_f16_e32 v108, v79, v74
	v_mul_f16_e32 v143, 0x3964, v105
	v_mul_f16_e32 v145, 0x39e9, v120
	v_sub_f16_e32 v96, v36, v31
	v_mul_f16_e32 v133, 0xb461, v123
	v_add_f16_e32 v37, v101, v37
	v_add_f16_e32 v95, v31, v36
	v_mul_f16_e32 v127, 0x3bb2, v108
	v_fma_f16 v101, v93, 0x39e9, -v143
	v_fmamk_f16 v103, v94, 0x3964, v145
	v_add_f16_e32 v38, v99, v38
	v_fmamk_f16 v99, v96, 0x3bb2, v133
	v_mul_f16_e32 v144, 0xb5c8, v108
	v_sub_f16_e32 v110, v78, v77
	v_fma_f16 v104, v95, 0xb461, -v127
	v_add_f16_e32 v83, v101, v83
	v_add_f16_e32 v84, v103, v84
	;; [unrolled: 1-line block ×4, first 2 shown]
	v_fma_f16 v103, v95, 0x3b76, -v144
	v_add_f16_e32 v99, v28, v25
	v_mul_f16_e32 v134, 0x3b29, v110
	v_mul_f16_e32 v146, 0xbbf7, v110
	v_add_f16_e32 v37, v104, v37
	v_mul_f16_e32 v150, 0x3b76, v123
	v_sub_f16_e32 v101, v25, v28
	v_mul_f16_e32 v138, 0x3722, v125
	v_fma_f16 v116, v99, 0x3722, -v134
	v_add_f16_e32 v83, v103, v83
	v_fma_f16 v119, v99, 0x2de8, -v146
	v_fmamk_f16 v104, v96, 0xb5c8, v150
	v_fmamk_f16 v103, v101, 0x3b29, v138
	v_add_f16_e32 v37, v116, v37
	v_mul_f16_e32 v151, 0x2de8, v125
	v_add_f16_e32 v83, v119, v83
	v_sub_f16_e32 v116, v68, v72
	v_add_f16_e32 v119, v72, v68
	v_add_f16_e32 v84, v104, v84
	;; [unrolled: 1-line block ×3, first 2 shown]
	v_fmamk_f16 v38, v101, 0xbbf7, v151
	v_add_f16_e32 v103, v27, v26
	v_sub_f16_e32 v104, v26, v27
	v_mul_f16_e32 v136, 0x35c8, v116
	v_mul_f16_e32 v140, 0x3b76, v119
	;; [unrolled: 1-line block ×4, first 2 shown]
	v_add_f16_e32 v132, v38, v84
	v_fma_f16 v38, v103, 0x3b76, -v136
	v_fmamk_f16 v84, v104, 0x35c8, v140
	v_fma_f16 v147, v103, 0xbacd, -v149
	v_fmamk_f16 v148, v104, 0xb836, v152
	v_add_f16_e32 v38, v38, v37
	v_add_f16_e32 v84, v84, v131
	;; [unrolled: 1-line block ×4, first 2 shown]
	s_barrier
	buffer_gl0_inv
	s_and_saveexec_b32 s1, vcc_lo
	s_cbranch_execz .LBB0_17
; %bb.16:
	v_mul_f16_e32 v171, 0xbbf7, v87
	v_mul_f16_e32 v170, 0xb1e1, v89
	;; [unrolled: 1-line block ×5, first 2 shown]
	v_fmamk_f16 v131, v106, 0x2de8, v171
	v_fmamk_f16 v132, v107, 0xbbdd, v170
	;; [unrolled: 1-line block ×3, first 2 shown]
	v_mul_f16_e32 v166, 0xbbf7, v98
	v_mul_f16_e32 v160, 0xb836, v96
	v_add_f16_e32 v131, v76, v131
	v_mul_f16_e32 v163, 0xb1e1, v100
	v_mul_f16_e32 v182, 0xbbb2, v87
	v_fma_f16 v148, v85, 0x2de8, -v166
	v_mul_f16_e32 v159, 0x3a62, v101
	v_add_f16_e32 v131, v132, v131
	v_fmamk_f16 v132, v115, 0x3b76, v168
	v_mul_f16_e32 v158, 0x3bb2, v97
	v_mul_f16_e32 v181, 0x3836, v89
	v_fma_f16 v154, v86, 0xbbdd, -v163
	v_add_f16_e32 v131, v147, v131
	v_fmamk_f16 v147, v120, 0x3722, v161
	v_add_f16_e32 v148, v70, v148
	v_mul_f16_e32 v157, 0x35c8, v102
	v_mul_f16_e32 v178, 0x3964, v90
	v_add_f16_e32 v131, v132, v131
	v_fmamk_f16 v132, v123, 0xbacd, v160
	v_fmamk_f16 v153, v125, 0xb8d2, v159
	v_fma_f16 v162, v88, 0xb461, -v158
	v_fmamk_f16 v164, v107, 0xbacd, v181
	v_add_f16_e32 v131, v147, v131
	v_fmamk_f16 v147, v106, 0xb461, v182
	v_add_f16_e32 v148, v154, v148
	v_mul_f16_e32 v155, 0xbb29, v105
	v_fma_f16 v154, v91, 0x3b76, -v157
	v_add_f16_e32 v131, v132, v131
	v_add_f16_e32 v132, v76, v147
	;; [unrolled: 1-line block ×3, first 2 shown]
	v_mul_f16_e32 v179, 0xbb29, v92
	v_mul_f16_e32 v177, 0xb1e1, v94
	v_add_f16_e32 v131, v153, v131
	v_add_f16_e32 v132, v164, v132
	v_fmamk_f16 v153, v111, 0x39e9, v178
	v_add_f16_e32 v148, v154, v148
	v_fma_f16 v154, v93, 0x3722, -v155
	v_mul_f16_e32 v164, 0xb836, v108
	v_mul_f16_e32 v156, 0x3964, v104
	v_add_f16_e32 v132, v153, v132
	v_fmamk_f16 v153, v115, 0x3722, v179
	v_add_f16_e32 v148, v154, v148
	v_fma_f16 v154, v95, 0xbacd, -v164
	v_mul_f16_e32 v165, 0x3a62, v110
	v_mul_f16_e32 v174, 0x3bf7, v96
	v_add_f16_e32 v132, v153, v132
	v_fmamk_f16 v153, v120, 0xbbdd, v177
	v_fmamk_f16 v147, v119, 0x39e9, v156
	v_add_f16_e32 v148, v154, v148
	v_fma_f16 v154, v99, 0xb8d2, -v165
	v_mul_f16_e32 v167, 0x3964, v116
	v_add_f16_e32 v132, v153, v132
	v_fmamk_f16 v153, v123, 0x2de8, v174
	v_mul_f16_e32 v175, 0xb5c8, v101
	v_mul_f16_e32 v188, 0xbbb2, v98
	v_add_f16_e32 v148, v154, v148
	v_fma_f16 v154, v103, 0x39e9, -v167
	v_add_f16_e32 v153, v153, v132
	v_fmamk_f16 v162, v125, 0x3b76, v175
	v_add_f16_e32 v131, v147, v131
	v_fma_f16 v147, v85, 0xb461, -v188
	v_mul_f16_e32 v180, 0x3836, v100
	v_add_f16_e32 v132, v154, v148
	v_add_f16_e32 v148, v162, v153
	v_mul_f16_e32 v193, 0xba62, v87
	v_add_f16_e32 v147, v70, v147
	v_fma_f16 v153, v86, 0xbacd, -v180
	v_mul_f16_e32 v189, 0x3964, v97
	v_mul_f16_e32 v194, 0x3bb2, v89
	v_fmamk_f16 v162, v106, 0xb8d2, v193
	v_mul_f16_e32 v190, 0xbb29, v102
	v_add_f16_e32 v147, v153, v147
	v_fma_f16 v153, v88, 0x39e9, -v189
	v_fmamk_f16 v172, v107, 0xb461, v194
	v_add_f16_e32 v162, v76, v162
	v_mul_f16_e32 v195, 0xb5c8, v90
	v_mul_f16_e32 v191, 0xb1e1, v105
	v_add_f16_e32 v147, v153, v147
	v_fma_f16 v153, v91, 0x3722, -v190
	v_add_f16_e32 v162, v172, v162
	v_fmamk_f16 v172, v111, 0x3b76, v195
	v_mul_f16_e32 v196, 0xb836, v92
	v_mul_f16_e32 v185, 0x3bf7, v108
	v_add_f16_e32 v147, v153, v147
	v_fma_f16 v153, v93, 0xbbdd, -v191
	v_add_f16_e32 v162, v172, v162
	v_fmamk_f16 v172, v115, 0xbacd, v196
	v_mul_f16_e32 v197, 0x3bf7, v94
	v_mul_f16_e32 v186, 0xb5c8, v110
	v_add_f16_e32 v147, v153, v147
	v_fma_f16 v153, v95, 0x2de8, -v185
	v_mul_f16_e32 v176, 0xba62, v104
	v_add_f16_e32 v162, v172, v162
	v_fmamk_f16 v172, v120, 0x2de8, v197
	v_mul_f16_e32 v198, 0xb964, v96
	v_add_f16_e32 v147, v153, v147
	v_fma_f16 v153, v99, 0x3b76, -v186
	v_mul_f16_e32 v187, 0xba62, v116
	v_fmamk_f16 v154, v119, 0xb8d2, v176
	v_add_f16_e32 v162, v172, v162
	v_fmamk_f16 v172, v123, 0x39e9, v198
	v_mul_f16_e32 v199, 0xb1e1, v101
	v_add_f16_e32 v153, v153, v147
	v_fma_f16 v173, v103, 0xb8d2, -v187
	v_mul_f16_e32 v200, 0xba62, v98
	v_add_f16_e32 v162, v172, v162
	v_fmamk_f16 v172, v125, 0xbbdd, v199
	v_add_f16_e32 v147, v154, v148
	v_add_f16_e32 v148, v173, v153
	v_fma_f16 v153, v85, 0xb8d2, -v200
	v_mul_f16_e32 v201, 0x3bb2, v100
	v_mul_f16_e32 v183, 0xb836, v87
	v_add_f16_e32 v154, v172, v162
	v_mul_f16_e32 v203, 0xb5c8, v97
	v_add_f16_e32 v153, v70, v153
	v_fma_f16 v162, v86, 0xb461, -v201
	v_fmamk_f16 v173, v106, 0xbacd, v183
	v_mul_f16_e32 v184, 0x3b29, v89
	v_mul_f16_e32 v204, 0xb836, v102
	;; [unrolled: 1-line block ×3, first 2 shown]
	v_add_f16_e32 v153, v162, v153
	v_fma_f16 v162, v88, 0x3b76, -v203
	v_add_f16_e32 v173, v76, v173
	v_fmamk_f16 v192, v107, 0x3722, v184
	v_mul_f16_e32 v206, 0x3bf7, v105
	v_mul_f16_e32 v207, 0x3a62, v92
	v_add_f16_e32 v153, v162, v153
	v_fma_f16 v162, v91, 0xbacd, -v204
	v_add_f16_e32 v173, v192, v173
	v_fmamk_f16 v192, v111, 0x2de8, v205
	v_mul_f16_e32 v208, 0xb964, v108
	v_mul_f16_e32 v209, 0xb5c8, v94
	;; [unrolled: 6-line block ×3, first 2 shown]
	v_add_f16_e32 v153, v162, v153
	v_fma_f16 v162, v95, 0x39e9, -v208
	v_add_f16_e32 v173, v192, v173
	v_fmamk_f16 v192, v120, 0x3b76, v209
	v_mul_f16_e32 v211, 0xb1e1, v96
	v_fmamk_f16 v172, v119, 0x3722, v202
	v_add_f16_e32 v153, v162, v153
	v_fma_f16 v162, v99, 0xbbdd, -v210
	v_mul_f16_e32 v212, 0x3b29, v116
	v_add_f16_e32 v173, v192, v173
	v_fmamk_f16 v192, v123, 0xbbdd, v211
	v_mul_f16_e32 v215, 0xb836, v98
	v_add_f16_e32 v162, v162, v153
	v_fma_f16 v214, v103, 0x3722, -v212
	v_add_f16_e32 v153, v172, v154
	v_add_f16_e32 v172, v192, v173
	v_mul_f16_e32 v173, 0xb1e1, v87
	v_fma_f16 v216, v85, 0xbacd, -v215
	v_mul_f16_e32 v217, 0x3b29, v100
	v_add_f16_e32 v154, v214, v162
	v_mul_f16_e32 v214, 0x35c8, v89
	v_fmamk_f16 v162, v106, 0xbbdd, v173
	v_add_f16_e32 v216, v70, v216
	v_fma_f16 v218, v86, 0x3722, -v217
	v_mul_f16_e32 v219, 0xbbf7, v97
	v_fmamk_f16 v220, v107, 0x3b76, v214
	v_add_f16_e32 v162, v76, v162
	v_mul_f16_e32 v221, 0xb836, v90
	v_add_f16_e32 v216, v218, v216
	v_fma_f16 v218, v88, 0x2de8, -v219
	v_mul_f16_e32 v222, 0x3a62, v102
	v_add_f16_e32 v162, v220, v162
	v_fmamk_f16 v220, v111, 0xbacd, v221
	v_mul_f16_e32 v223, 0x3964, v92
	v_add_f16_e32 v216, v218, v216
	v_fma_f16 v218, v91, 0xb8d2, -v222
	v_mul_f16_e32 v224, 0xb5c8, v105
	v_mul_f16_e32 v213, 0x3964, v101
	v_add_f16_e32 v162, v220, v162
	v_fmamk_f16 v220, v115, 0x39e9, v223
	v_mul_f16_e32 v225, 0xba62, v94
	v_add_f16_e32 v216, v218, v216
	v_fma_f16 v218, v93, 0x3b76, -v224
	v_mul_f16_e32 v226, 0xb1e1, v108
	v_fmamk_f16 v192, v125, 0x39e9, v213
	v_add_f16_e32 v162, v220, v162
	v_fmamk_f16 v220, v120, 0xb8d2, v225
	v_mul_f16_e32 v227, 0x3b29, v96
	v_add_f16_e32 v216, v218, v216
	v_fma_f16 v218, v95, 0xbbdd, -v226
	v_mul_f16_e32 v228, 0xbbb2, v104
	v_add_f16_e32 v162, v220, v162
	v_fmamk_f16 v220, v123, 0x3722, v227
	v_add_f16_e32 v172, v192, v172
	v_add_f16_e32 v192, v218, v216
	v_fmamk_f16 v216, v119, 0xb461, v228
	v_mul_f16_e32 v218, 0xb1e1, v98
	v_mul_f16_e32 v229, 0x3964, v110
	v_add_f16_e32 v220, v220, v162
	v_mul_f16_e32 v230, 0xbbb2, v101
	v_add_f16_e32 v162, v216, v172
	v_fma_f16 v172, v85, 0xbbdd, -v218
	v_mul_f16_e32 v216, 0x35c8, v100
	v_fma_f16 v231, v99, 0x39e9, -v229
	v_mul_f16_e32 v233, 0xbbb2, v116
	v_fmamk_f16 v232, v125, 0xb461, v230
	v_add_f16_e32 v172, v70, v172
	v_fma_f16 v234, v86, 0x3b76, -v216
	v_add_f16_e32 v192, v231, v192
	v_fma_f16 v231, v103, 0xb461, -v233
	v_add_f16_e32 v220, v232, v220
	v_fma_f16 v173, v106, 0xbbdd, -v173
	v_add_f16_e32 v232, v234, v172
	v_mul_f16_e32 v235, 0xb836, v97
	v_add_f16_e32 v172, v231, v192
	v_mul_f16_e32 v192, 0x3bf7, v104
	v_add_f16_e32 v238, v76, v173
	v_fma_f16 v214, v107, 0x3b76, -v214
	v_fma_f16 v234, v88, 0xbacd, -v235
	v_mul_f16_e32 v236, 0x3964, v102
	v_fmamk_f16 v237, v119, 0x2de8, v192
	v_fmac_f16_e32 v218, 0xbbdd, v85
	v_add_f16_e32 v214, v214, v238
	v_add_f16_e32 v231, v234, v232
	v_fma_f16 v232, v91, 0x39e9, -v236
	v_add_f16_e32 v173, v237, v220
	v_fma_f16 v220, v111, 0xbacd, -v221
	v_mul_f16_e32 v234, 0xba62, v105
	v_add_f16_e32 v218, v70, v218
	v_fmac_f16_e32 v216, 0x3b76, v86
	v_add_f16_e32 v231, v232, v231
	v_add_f16_e32 v214, v220, v214
	v_fma_f16 v220, v115, 0x39e9, -v223
	v_fma_f16 v232, v93, 0xb8d2, -v234
	v_add_f16_e32 v216, v216, v218
	v_fmac_f16_e32 v235, 0xbacd, v88
	v_fma_f16 v218, v120, 0xb8d2, -v225
	v_add_f16_e32 v214, v220, v214
	v_add_f16_e32 v221, v232, v231
	v_mul_f16_e32 v231, 0x3b29, v108
	v_add_f16_e32 v216, v235, v216
	v_fmac_f16_e32 v236, 0x39e9, v91
	v_add_f16_e32 v214, v218, v214
	v_fma_f16 v218, v123, 0x3722, -v227
	v_fma_f16 v223, v95, 0x3722, -v231
	v_mul_f16_e32 v232, 0xbbb2, v110
	v_add_f16_e32 v216, v236, v216
	v_fmac_f16_e32 v234, 0xb8d2, v93
	v_add_f16_e32 v214, v218, v214
	v_fma_f16 v218, v125, 0xb461, -v230
	v_fma_f16 v183, v106, 0xbacd, -v183
	v_add_f16_e32 v220, v223, v221
	v_fma_f16 v221, v99, 0xb461, -v232
	v_add_f16_e32 v216, v234, v216
	v_fmac_f16_e32 v231, 0x3722, v95
	v_add_f16_e32 v214, v218, v214
	v_fma_f16 v192, v119, 0x2de8, -v192
	v_add_f16_e32 v218, v76, v183
	v_fma_f16 v225, v107, 0x3722, -v184
	v_add_f16_e32 v220, v221, v220
	v_mul_f16_e32 v221, 0x3bf7, v116
	v_add_f16_e32 v216, v231, v216
	v_fmac_f16_e32 v232, 0xb461, v99
	v_add_f16_e32 v184, v192, v214
	v_add_f16_e32 v192, v225, v218
	v_fma_f16 v205, v111, 0x2de8, -v205
	v_fma_f16 v223, v103, 0x2de8, -v221
	v_add_f16_e32 v214, v232, v216
	v_fmac_f16_e32 v221, 0x2de8, v103
	v_fmac_f16_e32 v215, 0xbacd, v85
	v_add_f16_e32 v205, v205, v192
	v_fma_f16 v207, v115, 0xb8d2, -v207
	v_fmac_f16_e32 v217, 0x3722, v86
	v_add_f16_e32 v192, v221, v214
	v_add_f16_e32 v214, v70, v215
	v_fmac_f16_e32 v219, 0x2de8, v88
	v_add_f16_e32 v205, v207, v205
	v_fma_f16 v207, v120, 0x3b76, -v209
	v_fmac_f16_e32 v222, 0xb8d2, v91
	v_add_f16_e32 v214, v217, v214
	v_fma_f16 v221, v119, 0xb461, -v228
	v_mul_f16_e32 v218, 0xb964, v87
	v_add_f16_e32 v205, v207, v205
	v_fma_f16 v207, v123, 0xbbdd, -v211
	v_add_f16_e32 v214, v219, v214
	v_fma_f16 v194, v107, 0xb461, -v194
	v_mul_f16_e32 v211, 0xbbf7, v89
	v_fma_f16 v195, v111, 0x3b76, -v195
	v_add_f16_e32 v205, v207, v205
	v_fma_f16 v207, v125, 0x39e9, -v213
	v_add_f16_e32 v214, v222, v214
	v_fma_f16 v222, v106, 0xb8d2, -v193
	v_sub_f16_e32 v114, v114, v218
	v_fmac_f16_e32 v200, 0xb8d2, v85
	v_add_f16_e32 v205, v207, v205
	v_mul_f16_e32 v207, 0xba62, v90
	v_fma_f16 v196, v115, 0xbacd, -v196
	v_add_f16_e32 v114, v76, v114
	v_sub_f16_e32 v118, v118, v211
	v_add_f16_e32 v193, v221, v205
	v_add_f16_e32 v205, v76, v222
	v_mul_f16_e32 v216, 0x39e9, v85
	v_add_f16_e32 v200, v70, v200
	v_fmac_f16_e32 v201, 0xb461, v86
	v_add_f16_e32 v114, v118, v114
	v_add_f16_e32 v194, v194, v205
	v_mul_f16_e32 v205, 0xb1e1, v92
	v_sub_f16_e32 v118, v122, v207
	v_mul_f16_e32 v217, 0x2de8, v86
	v_add_f16_e32 v200, v201, v200
	v_add_f16_e32 v194, v195, v194
	v_fmac_f16_e32 v203, 0x3b76, v88
	v_add_f16_e32 v109, v216, v109
	v_add_f16_e32 v114, v118, v114
	v_sub_f16_e32 v118, v126, v205
	v_add_f16_e32 v194, v196, v194
	v_fma_f16 v196, v120, 0x2de8, -v197
	v_mul_f16_e32 v197, 0x3836, v94
	v_add_f16_e32 v183, v223, v220
	v_mul_f16_e32 v220, 0xb8d2, v88
	v_add_f16_e32 v200, v203, v200
	v_add_f16_e32 v194, v196, v194
	v_fma_f16 v196, v123, 0x39e9, -v198
	v_fmac_f16_e32 v204, 0xbacd, v91
	v_fma_f16 v182, v106, 0xb461, -v182
	v_fma_f16 v171, v106, 0x2de8, -v171
	v_add_f16_e32 v109, v70, v109
	v_add_f16_e32 v194, v196, v194
	v_mul_f16_e32 v196, 0x3bb2, v96
	v_add_f16_e32 v112, v217, v112
	v_add_f16_e32 v114, v118, v114
	v_sub_f16_e32 v118, v130, v197
	v_mul_f16_e32 v106, 0x3b76, v106
	v_mul_f16_e32 v222, 0xbbdd, v91
	v_add_f16_e32 v200, v204, v200
	v_fmac_f16_e32 v206, 0x2de8, v93
	v_add_f16_e32 v182, v76, v182
	v_fma_f16 v181, v107, 0xbacd, -v181
	v_fma_f16 v170, v107, 0xbbdd, -v170
	v_add_f16_e32 v109, v112, v109
	v_add_f16_e32 v112, v220, v113
	;; [unrolled: 1-line block ×3, first 2 shown]
	v_sub_f16_e32 v114, v133, v196
	v_fmamk_f16 v118, v87, 0x35c8, v106
	v_mul_f16_e32 v107, 0x39e9, v107
	v_mul_f16_e32 v225, 0xbacd, v93
	v_add_f16_e32 v200, v206, v200
	v_fmac_f16_e32 v208, 0x39e9, v95
	v_add_f16_e32 v181, v181, v182
	v_mul_f16_e32 v182, 0x3b29, v101
	v_fma_f16 v178, v111, 0x39e9, -v178
	v_fma_f16 v169, v111, 0xb461, -v169
	v_add_f16_e32 v109, v112, v109
	v_add_f16_e32 v112, v222, v117
	;; [unrolled: 1-line block ×4, first 2 shown]
	v_fmamk_f16 v117, v89, 0x3964, v107
	v_mul_f16_e32 v111, 0x3722, v111
	v_mul_f16_e32 v203, 0xb461, v95
	v_add_f16_e32 v200, v208, v200
	v_fmac_f16_e32 v210, 0xbbdd, v99
	v_fma_f16 v179, v115, 0x3722, -v179
	v_fma_f16 v168, v115, 0x3b76, -v168
	v_add_f16_e32 v109, v112, v109
	v_add_f16_e32 v112, v225, v121
	v_sub_f16_e32 v118, v138, v182
	v_add_f16_e32 v114, v117, v114
	v_fmamk_f16 v117, v90, 0x3b29, v111
	v_mul_f16_e32 v115, 0x2de8, v115
	v_mul_f16_e32 v206, 0x3722, v99
	v_add_f16_e32 v200, v210, v200
	v_mul_f16_e32 v210, 0x35c8, v104
	v_add_f16_e32 v109, v112, v109
	v_add_f16_e32 v112, v203, v127
	;; [unrolled: 1-line block ×4, first 2 shown]
	v_fmamk_f16 v117, v92, 0x3bf7, v115
	v_mul_f16_e32 v118, 0xb461, v120
	v_add_f16_e32 v178, v178, v181
	v_mul_f16_e32 v181, 0x3b76, v103
	v_fma_f16 v177, v120, 0xbbdd, -v177
	v_fma_f16 v161, v120, 0x3722, -v161
	v_add_f16_e32 v109, v112, v109
	v_add_f16_e32 v112, v206, v134
	v_sub_f16_e32 v120, v140, v210
	v_add_f16_e32 v114, v117, v114
	v_fmamk_f16 v117, v94, 0x3bb2, v118
	v_mul_f16_e32 v121, 0xb8d2, v123
	v_mul_f16_e32 v98, 0xb5c8, v98
	v_add_f16_e32 v33, v33, v70
	v_add_f16_e32 v81, v81, v76
	;; [unrolled: 1-line block ×5, first 2 shown]
	v_fmamk_f16 v117, v96, 0x3a62, v121
	v_add_f16_e32 v113, v120, v113
	v_fmamk_f16 v120, v85, 0x3b76, v98
	v_mul_f16_e32 v100, 0xb964, v100
	v_add_f16_e32 v33, v34, v33
	v_add_f16_e32 v34, v80, v81
	v_add_f16_e32 v109, v112, v109
	v_add_f16_e32 v112, v117, v114
	v_add_f16_e32 v117, v70, v120
	v_fmamk_f16 v120, v86, 0x39e9, v100
	v_mul_f16_e32 v97, 0xbb29, v97
	v_add_f16_e32 v29, v29, v33
	v_add_f16_e32 v33, v69, v34
	v_mul_f16_e32 v81, 0xbbf7, v102
	v_add_f16_e32 v117, v120, v117
	v_fmamk_f16 v80, v88, 0x3722, v97
	v_add_f16_e32 v29, v30, v29
	v_add_f16_e32 v30, v75, v33
	v_fmamk_f16 v69, v91, 0x2de8, v81
	v_mul_f16_e32 v215, 0x3722, v85
	v_add_f16_e32 v34, v80, v117
	v_mul_f16_e32 v80, 0xbbb2, v105
	v_add_f16_e32 v29, v35, v29
	v_add_f16_e32 v30, v82, v30
	v_mul_f16_e32 v35, 0xba62, v108
	v_add_f16_e32 v34, v69, v34
	v_fmamk_f16 v69, v93, 0xb461, v80
	v_add_f16_e32 v29, v36, v29
	v_add_f16_e32 v30, v79, v30
	v_fmamk_f16 v36, v95, 0xb8d2, v35
	v_mul_f16_e32 v209, 0xbb29, v87
	v_add_f16_e32 v34, v69, v34
	v_mul_f16_e32 v69, 0xb836, v110
	v_add_f16_e32 v25, v25, v29
	v_add_f16_e32 v29, v78, v30
	v_mul_f16_e32 v219, 0xb8d2, v86
	v_add_f16_e32 v30, v36, v34
	v_fmamk_f16 v34, v99, 0xbacd, v69
	v_mul_f16_e32 v36, 0xb1e1, v116
	v_add_f16_e32 v25, v26, v25
	v_add_f16_e32 v26, v68, v29
	v_mul_f16_e32 v213, 0xba62, v89
	v_sub_f16_e32 v129, v129, v209
	v_add_f16_e32 v124, v215, v124
	v_fmac_f16_e32 v188, 0xb461, v85
	v_fmac_f16_e32 v166, 0x2de8, v85
	;; [unrolled: 1-line block ×3, first 2 shown]
	v_add_f16_e32 v29, v34, v30
	v_fmamk_f16 v30, v103, 0xbbdd, v36
	v_add_f16_e32 v25, v27, v25
	v_add_f16_e32 v26, v72, v26
	v_fmac_f16_e32 v224, 0x3b76, v93
	v_mul_f16_e32 v223, 0xbbdd, v88
	v_mul_f16_e32 v221, 0x31e1, v90
	v_add_f16_e32 v129, v76, v129
	v_sub_f16_e32 v137, v137, v213
	v_add_f16_e32 v124, v70, v124
	v_add_f16_e32 v128, v219, v128
	;; [unrolled: 1-line block ×3, first 2 shown]
	v_fmac_f16_e32 v180, 0xbacd, v86
	v_add_f16_e32 v171, v76, v171
	v_add_f16_e32 v166, v70, v166
	v_fmac_f16_e32 v163, 0xbbdd, v86
	v_add_f16_e32 v27, v76, v106
	v_fmac_f16_e32 v107, 0xb964, v89
	v_add_f16_e32 v29, v30, v29
	v_fma_f16 v30, v85, 0x3b76, -v98
	v_add_f16_e32 v25, v28, v25
	v_add_f16_e32 v26, v77, v26
	;; [unrolled: 1-line block ×3, first 2 shown]
	v_mul_f16_e32 v224, 0xb461, v91
	v_mul_f16_e32 v195, 0x3bb2, v92
	v_add_f16_e32 v129, v137, v129
	v_sub_f16_e32 v137, v139, v221
	v_add_f16_e32 v124, v128, v124
	v_add_f16_e32 v128, v223, v135
	;; [unrolled: 1-line block ×4, first 2 shown]
	v_fmac_f16_e32 v189, 0x39e9, v88
	v_add_f16_e32 v170, v170, v171
	v_add_f16_e32 v163, v163, v166
	v_fmac_f16_e32 v158, 0xb461, v88
	v_add_f16_e32 v27, v107, v27
	v_fmac_f16_e32 v111, 0xbb29, v90
	v_add_f16_e32 v28, v70, v30
	v_fma_f16 v30, v86, 0x39e9, -v100
	v_add_f16_e32 v25, v31, v25
	v_add_f16_e32 v26, v74, v26
	v_mul_f16_e32 v201, 0x39e9, v93
	v_mul_f16_e32 v198, 0x3964, v94
	v_fma_f16 v199, v125, 0xbbdd, -v199
	v_add_f16_e32 v129, v137, v129
	v_sub_f16_e32 v137, v142, v195
	v_add_f16_e32 v124, v128, v124
	v_add_f16_e32 v128, v224, v141
	;; [unrolled: 1-line block ×4, first 2 shown]
	v_fmac_f16_e32 v190, 0x3722, v91
	v_add_f16_e32 v169, v169, v170
	v_add_f16_e32 v158, v158, v163
	v_fmac_f16_e32 v157, 0x3b76, v91
	v_add_f16_e32 v27, v111, v27
	v_fmac_f16_e32 v115, 0xbbf7, v92
	v_add_f16_e32 v28, v30, v28
	v_fma_f16 v30, v88, 0x3722, -v97
	v_add_f16_e32 v25, v32, v25
	v_add_f16_e32 v26, v73, v26
	v_mul_f16_e32 v204, 0x3b76, v95
	v_add_f16_e32 v194, v199, v194
	v_mul_f16_e32 v199, 0xb5c8, v96
	v_fma_f16 v202, v119, 0x3722, -v202
	v_add_f16_e32 v129, v137, v129
	v_sub_f16_e32 v135, v145, v198
	v_add_f16_e32 v124, v128, v124
	v_add_f16_e32 v128, v201, v143
	;; [unrolled: 1-line block ×3, first 2 shown]
	v_fmac_f16_e32 v191, 0xbbdd, v93
	v_add_f16_e32 v168, v168, v169
	v_add_f16_e32 v157, v157, v158
	v_fmac_f16_e32 v155, 0x3722, v93
	v_add_f16_e32 v27, v115, v27
	v_fmac_f16_e32 v118, 0xbbb2, v94
	v_add_f16_e32 v28, v30, v28
	v_fma_f16 v30, v91, 0x2de8, -v81
	v_mul_f16_e32 v114, 0xbacd, v125
	v_add_f16_e32 v23, v23, v25
	v_add_f16_e32 v25, v67, v26
	v_mul_f16_e32 v208, 0x2de8, v99
	v_add_f16_e32 v194, v202, v194
	v_mul_f16_e32 v202, 0xbbf7, v101
	v_fmac_f16_e32 v212, 0x3722, v103
	v_add_f16_e32 v129, v135, v129
	v_sub_f16_e32 v135, v150, v199
	v_add_f16_e32 v124, v128, v124
	v_add_f16_e32 v128, v204, v144
	v_fma_f16 v174, v123, 0x2de8, -v174
	v_add_f16_e32 v170, v191, v171
	v_fmac_f16_e32 v185, 0x2de8, v95
	v_add_f16_e32 v161, v161, v168
	v_fma_f16 v160, v123, 0xbacd, -v160
	v_add_f16_e32 v139, v155, v157
	v_fmac_f16_e32 v164, 0xbacd, v95
	v_fmac_f16_e32 v226, 0xbbdd, v95
	v_add_f16_e32 v26, v118, v27
	v_fmac_f16_e32 v121, 0xba62, v96
	v_add_f16_e32 v27, v30, v28
	v_fma_f16 v28, v93, 0xb461, -v80
	v_fmamk_f16 v123, v101, 0x3836, v114
	v_mul_f16_e32 v33, 0xbbdd, v119
	v_add_f16_e32 v23, v24, v23
	v_add_f16_e32 v24, v71, v25
	v_mul_f16_e32 v179, 0xbacd, v103
	v_add_f16_e32 v200, v212, v200
	v_mul_f16_e32 v212, 0xb836, v104
	v_add_f16_e32 v129, v135, v129
	v_sub_f16_e32 v135, v151, v202
	v_add_f16_e32 v122, v128, v124
	v_add_f16_e32 v124, v208, v146
	v_add_f16_e32 v174, v174, v177
	v_fma_f16 v175, v125, 0x3b76, -v175
	v_add_f16_e32 v169, v185, v170
	v_fmac_f16_e32 v186, 0x3b76, v99
	v_add_f16_e32 v160, v160, v161
	v_fma_f16 v159, v125, 0xb8d2, -v159
	v_add_f16_e32 v139, v164, v139
	v_fmac_f16_e32 v165, 0xb8d2, v99
	v_add_f16_e32 v214, v226, v214
	v_fmac_f16_e32 v229, 0x39e9, v99
	;; [unrolled: 2-line block ×3, first 2 shown]
	v_add_f16_e32 v26, v28, v27
	v_fma_f16 v27, v95, 0xb8d2, -v35
	v_add_f16_e32 v102, v123, v112
	v_fmamk_f16 v75, v104, 0x31e1, v33
	v_add_f16_e32 v13, v13, v23
	v_add_f16_e32 v23, v66, v24
	;; [unrolled: 1-line block ×3, first 2 shown]
	v_sub_f16_e32 v135, v152, v212
	v_add_f16_e32 v122, v124, v122
	v_add_f16_e32 v124, v179, v149
	;; [unrolled: 1-line block ×3, first 2 shown]
	v_fma_f16 v175, v119, 0xb8d2, -v176
	v_add_f16_e32 v168, v186, v169
	v_fmac_f16_e32 v187, 0xb8d2, v103
	v_add_f16_e32 v159, v159, v160
	v_fma_f16 v156, v119, 0x39e9, -v156
	v_add_f16_e32 v137, v165, v139
	v_fmac_f16_e32 v167, 0x39e9, v103
	v_add_f16_e32 v214, v229, v214
	v_fmac_f16_e32 v233, 0xb461, v103
	v_add_f16_e32 v24, v114, v25
	v_add_f16_e32 v25, v27, v26
	v_fma_f16 v26, v99, 0xbacd, -v69
	v_add_f16_e32 v75, v75, v102
	v_add_f16_e32 v13, v14, v13
	v_and_b32_e32 v14, 0xffff, v43
	v_add_f16_e32 v23, v45, v23
	v_add_f16_e32 v128, v135, v129
	v_add_f16_e32 v122, v124, v122
	v_add_f16_e32 v171, v175, v174
	v_add_f16_e32 v161, v187, v168
	v_add_f16_e32 v156, v156, v159
	v_add_f16_e32 v137, v167, v137
	v_add_f16_e32 v214, v233, v214
	v_fmac_f16_e32 v33, 0xb1e1, v104
	v_add_f16_e32 v25, v26, v25
	v_fma_f16 v26, v103, 0xbbdd, -v36
	v_lshl_add_u32 v14, v14, 2, v42
	v_pack_b32_f16 v27, v29, v75
	v_pack_b32_f16 v13, v13, v23
	v_pack_b32_f16 v23, v122, v128
	v_pack_b32_f16 v28, v109, v113
	v_pack_b32_f16 v29, v161, v171
	v_pack_b32_f16 v30, v137, v156
	v_pack_b32_f16 v31, v214, v193
	v_pack_b32_f16 v32, v200, v194
	v_add_f16_e32 v24, v33, v24
	v_add_f16_e32 v25, v26, v25
	ds_write2_b32 v14, v13, v27 offset1:1
	ds_write2_b32 v14, v28, v23 offset0:2 offset1:3
	ds_write2_b32 v14, v30, v29 offset0:4 offset1:5
	;; [unrolled: 1-line block ×3, first 2 shown]
	v_pack_b32_f16 v13, v183, v173
	v_pack_b32_f16 v23, v192, v184
	v_pack_b32_f16 v26, v154, v153
	v_pack_b32_f16 v27, v172, v162
	v_pack_b32_f16 v28, v132, v131
	v_pack_b32_f16 v29, v148, v147
	v_perm_b32 v30, v84, v38, 0x5040100
	v_perm_b32 v31, v83, v37, 0x5040100
	v_pack_b32_f16 v24, v25, v24
	ds_write2_b32 v14, v23, v13 offset0:8 offset1:9
	ds_write2_b32 v14, v27, v26 offset0:10 offset1:11
	;; [unrolled: 1-line block ×4, first 2 shown]
	ds_write_b32 v14, v24 offset:64
.LBB0_17:
	s_or_b32 exec_lo, exec_lo, s1
	v_add_nc_u32_e32 v29, 0x400, v46
	s_waitcnt lgkmcnt(0)
	s_barrier
	buffer_gl0_inv
	ds_read2_b32 v[27:28], v46 offset1:34
	ds_read2_b32 v[13:14], v46 offset0:204 offset1:255
	ds_read2_b32 v[33:34], v29 offset0:33 offset1:67
	;; [unrolled: 1-line block ×6, first 2 shown]
	s_and_saveexec_b32 s1, s0
	s_cbranch_execz .LBB0_19
; %bb.18:
	v_add_nc_u32_e32 v35, 0x3b8, v46
	ds_read2_b32 v[37:38], v35 offset1:255
	s_waitcnt lgkmcnt(0)
	v_lshrrev_b32_e32 v83, 16, v37
	v_lshrrev_b32_e32 v84, 16, v38
.LBB0_19:
	s_or_b32 exec_lo, exec_lo, s1
	s_waitcnt lgkmcnt(5)
	v_lshrrev_b32_e32 v45, 16, v14
	s_waitcnt lgkmcnt(4)
	v_lshrrev_b32_e32 v67, 16, v33
	v_mul_f16_sdwa v77, v55, v14 dst_sel:DWORD dst_unused:UNUSED_PAD src0_sel:WORD_1 src1_sel:DWORD
	s_waitcnt lgkmcnt(2)
	v_lshrrev_b32_e32 v71, 16, v31
	v_lshrrev_b32_e32 v69, 16, v34
	v_mul_f16_sdwa v76, v55, v45 dst_sel:DWORD dst_unused:UNUSED_PAD src0_sel:WORD_1 src1_sel:DWORD
	v_mul_f16_sdwa v79, v56, v67 dst_sel:DWORD dst_unused:UNUSED_PAD src0_sel:WORD_1 src1_sel:DWORD
	v_lshrrev_b32_e32 v73, 16, v32
	s_waitcnt lgkmcnt(0)
	v_lshrrev_b32_e32 v75, 16, v29
	v_lshrrev_b32_e32 v80, 16, v30
	v_fmac_f16_e32 v76, v55, v14
	v_fma_f16 v14, v55, v45, -v77
	v_mul_f16_sdwa v45, v56, v33 dst_sel:DWORD dst_unused:UNUSED_PAD src0_sel:WORD_1 src1_sel:DWORD
	v_mul_f16_sdwa v77, v52, v71 dst_sel:DWORD dst_unused:UNUSED_PAD src0_sel:WORD_1 src1_sel:DWORD
	v_fmac_f16_e32 v79, v56, v33
	v_mul_f16_sdwa v33, v53, v69 dst_sel:DWORD dst_unused:UNUSED_PAD src0_sel:WORD_1 src1_sel:DWORD
	v_mul_f16_sdwa v55, v53, v34 dst_sel:DWORD dst_unused:UNUSED_PAD src0_sel:WORD_1 src1_sel:DWORD
	v_fma_f16 v45, v56, v67, -v45
	v_mul_f16_sdwa v56, v52, v31 dst_sel:DWORD dst_unused:UNUSED_PAD src0_sel:WORD_1 src1_sel:DWORD
	v_fmac_f16_e32 v77, v52, v31
	v_mul_f16_sdwa v31, v50, v73 dst_sel:DWORD dst_unused:UNUSED_PAD src0_sel:WORD_1 src1_sel:DWORD
	v_fmac_f16_e32 v33, v53, v34
	v_fma_f16 v34, v53, v69, -v55
	v_fma_f16 v52, v52, v71, -v56
	v_mul_f16_sdwa v55, v51, v75 dst_sel:DWORD dst_unused:UNUSED_PAD src0_sel:WORD_1 src1_sel:DWORD
	v_mul_f16_sdwa v56, v51, v29 dst_sel:DWORD dst_unused:UNUSED_PAD src0_sel:WORD_1 src1_sel:DWORD
	v_lshrrev_b32_e32 v43, 16, v27
	v_mul_f16_sdwa v53, v50, v32 dst_sel:DWORD dst_unused:UNUSED_PAD src0_sel:WORD_1 src1_sel:DWORD
	v_fmac_f16_e32 v31, v50, v32
	v_mul_f16_sdwa v32, v49, v80 dst_sel:DWORD dst_unused:UNUSED_PAD src0_sel:WORD_1 src1_sel:DWORD
	v_lshrrev_b32_e32 v66, 16, v28
	v_fmac_f16_e32 v55, v51, v29
	v_fma_f16 v29, v51, v75, -v56
	v_mul_f16_sdwa v51, v49, v30 dst_sel:DWORD dst_unused:UNUSED_PAD src0_sel:WORD_1 src1_sel:DWORD
	v_lshrrev_b32_e32 v68, 16, v25
	v_fmac_f16_e32 v32, v49, v30
	v_sub_f16_e32 v30, v27, v76
	v_sub_f16_e32 v14, v43, v14
	v_lshrrev_b32_e32 v70, 16, v26
	v_fma_f16 v50, v50, v73, -v53
	v_sub_f16_e32 v53, v28, v79
	v_sub_f16_e32 v45, v66, v45
	v_lshrrev_b32_e32 v72, 16, v23
	v_lshrrev_b32_e32 v74, 16, v24
	;; [unrolled: 1-line block ×3, first 2 shown]
	v_fma_f16 v49, v49, v80, -v51
	v_fma_f16 v27, v27, 2.0, -v30
	v_fma_f16 v43, v43, 2.0, -v14
	v_sub_f16_e32 v33, v25, v33
	v_sub_f16_e32 v34, v68, v34
	v_fma_f16 v28, v28, 2.0, -v53
	v_fma_f16 v51, v66, 2.0, -v45
	v_sub_f16_e32 v56, v26, v77
	v_sub_f16_e32 v52, v70, v52
	;; [unrolled: 1-line block ×8, first 2 shown]
	v_fma_f16 v25, v25, 2.0, -v33
	v_fma_f16 v66, v68, 2.0, -v34
	v_pack_b32_f16 v27, v27, v43
	v_pack_b32_f16 v14, v30, v14
	v_fma_f16 v26, v26, 2.0, -v56
	v_fma_f16 v67, v70, 2.0, -v52
	v_pack_b32_f16 v28, v28, v51
	v_pack_b32_f16 v30, v53, v45
	v_fma_f16 v23, v23, 2.0, -v31
	v_fma_f16 v68, v72, 2.0, -v50
	v_fma_f16 v24, v24, 2.0, -v55
	v_fma_f16 v69, v74, 2.0, -v29
	v_fma_f16 v13, v13, 2.0, -v32
	v_fma_f16 v70, v78, 2.0, -v49
	v_add_nc_u32_e32 v36, 0x88, v44
	v_add_nc_u32_e32 v35, 0x110, v44
	s_barrier
	buffer_gl0_inv
	ds_write2_b32 v54, v27, v14 offset1:17
	ds_write2_b32 v62, v28, v30 offset1:17
	v_pack_b32_f16 v14, v25, v66
	v_pack_b32_f16 v25, v33, v34
	;; [unrolled: 1-line block ×10, first 2 shown]
	ds_write2_b32 v57, v14, v25 offset1:17
	ds_write2_b32 v58, v26, v27 offset1:17
	;; [unrolled: 1-line block ×5, first 2 shown]
	s_and_saveexec_b32 s1, s0
	s_cbranch_execz .LBB0_21
; %bb.20:
	v_mul_f16_sdwa v13, v48, v84 dst_sel:DWORD dst_unused:UNUSED_PAD src0_sel:WORD_1 src1_sel:DWORD
	v_mul_f16_sdwa v14, v48, v38 dst_sel:DWORD dst_unused:UNUSED_PAD src0_sel:WORD_1 src1_sel:DWORD
	v_lshl_add_u32 v25, v47, 2, v42
	v_fmac_f16_e32 v13, v48, v38
	v_fma_f16 v14, v48, v84, -v14
	v_sub_f16_e32 v13, v37, v13
	v_sub_f16_e32 v14, v83, v14
	v_fma_f16 v23, v37, 2.0, -v13
	v_fma_f16 v24, v83, 2.0, -v14
	v_pack_b32_f16 v13, v13, v14
	v_pack_b32_f16 v14, v23, v24
	v_add_nc_u32_e32 v23, 0x400, v25
	ds_write2_b32 v23, v14, v13 offset0:220 offset1:237
.LBB0_21:
	s_or_b32 exec_lo, exec_lo, s1
	v_add_nc_u32_e32 v37, 0x400, v46
	s_waitcnt lgkmcnt(0)
	s_barrier
	buffer_gl0_inv
	ds_read2_b32 v[13:14], v46 offset1:34
	ds_read2_b32 v[23:24], v46 offset0:136 offset1:170
	ds_read2_b32 v[25:26], v46 offset0:204 offset1:238
	;; [unrolled: 1-line block ×3, first 2 shown]
	ds_read_b32 v38, v46 offset:1904
	ds_read2_b32 v[29:30], v37 offset0:84 offset1:118
	ds_read2_b32 v[31:32], v37 offset0:152 offset1:186
	;; [unrolled: 1-line block ×3, first 2 shown]
	s_waitcnt lgkmcnt(0)
	s_barrier
	buffer_gl0_inv
	v_lshrrev_b32_e32 v42, 16, v13
	v_lshrrev_b32_e32 v43, 16, v24
	;; [unrolled: 1-line block ×3, first 2 shown]
	v_mul_f16_sdwa v53, v15, v24 dst_sel:DWORD dst_unused:UNUSED_PAD src0_sel:WORD_1 src1_sel:DWORD
	v_lshrrev_b32_e32 v55, 16, v29
	v_lshrrev_b32_e32 v56, 16, v30
	v_mul_f16_sdwa v61, v15, v43 dst_sel:DWORD dst_unused:UNUSED_PAD src0_sel:WORD_1 src1_sel:DWORD
	v_lshrrev_b32_e32 v49, 16, v26
	v_fma_f16 v43, v15, v43, -v53
	v_mul_f16_sdwa v62, v16, v55 dst_sel:DWORD dst_unused:UNUSED_PAD src0_sel:WORD_1 src1_sel:DWORD
	v_mul_f16_sdwa v53, v15, v47 dst_sel:DWORD dst_unused:UNUSED_PAD src0_sel:WORD_1 src1_sel:DWORD
	;; [unrolled: 1-line block ×3, first 2 shown]
	v_lshrrev_b32_e32 v57, 16, v31
	v_mul_f16_sdwa v66, v16, v29 dst_sel:DWORD dst_unused:UNUSED_PAD src0_sel:WORD_1 src1_sel:DWORD
	v_fmac_f16_e32 v62, v16, v29
	v_mul_f16_sdwa v29, v16, v56 dst_sel:DWORD dst_unused:UNUSED_PAD src0_sel:WORD_1 src1_sel:DWORD
	v_fmac_f16_e32 v53, v15, v25
	;; [unrolled: 2-line block ×3, first 2 shown]
	v_fma_f16 v15, v15, v47, -v54
	v_mul_f16_sdwa v47, v21, v49 dst_sel:DWORD dst_unused:UNUSED_PAD src0_sel:WORD_1 src1_sel:DWORD
	v_lshrrev_b32_e32 v58, 16, v33
	v_fma_f16 v24, v16, v55, -v66
	v_fmac_f16_e32 v29, v16, v30
	v_mul_f16_sdwa v30, v21, v26 dst_sel:DWORD dst_unused:UNUSED_PAD src0_sel:WORD_1 src1_sel:DWORD
	v_fma_f16 v16, v16, v56, -v25
	v_mul_f16_sdwa v25, v22, v57 dst_sel:DWORD dst_unused:UNUSED_PAD src0_sel:WORD_1 src1_sel:DWORD
	v_lshrrev_b32_e32 v59, 16, v32
	v_fmac_f16_e32 v47, v21, v26
	v_mul_f16_sdwa v26, v22, v31 dst_sel:DWORD dst_unused:UNUSED_PAD src0_sel:WORD_1 src1_sel:DWORD
	v_lshrrev_b32_e32 v60, 16, v34
	v_fma_f16 v21, v21, v49, -v30
	v_mul_f16_sdwa v30, v19, v58 dst_sel:DWORD dst_unused:UNUSED_PAD src0_sel:WORD_1 src1_sel:DWORD
	v_fmac_f16_e32 v25, v22, v31
	v_mul_f16_sdwa v31, v19, v33 dst_sel:DWORD dst_unused:UNUSED_PAD src0_sel:WORD_1 src1_sel:DWORD
	v_fma_f16 v22, v22, v57, -v26
	v_mul_f16_sdwa v26, v20, v59 dst_sel:DWORD dst_unused:UNUSED_PAD src0_sel:WORD_1 src1_sel:DWORD
	v_lshrrev_b32_e32 v52, 16, v38
	v_fmac_f16_e32 v30, v19, v33
	v_mul_f16_sdwa v33, v20, v32 dst_sel:DWORD dst_unused:UNUSED_PAD src0_sel:WORD_1 src1_sel:DWORD
	v_fma_f16 v19, v19, v58, -v31
	v_mul_f16_sdwa v31, v17, v60 dst_sel:DWORD dst_unused:UNUSED_PAD src0_sel:WORD_1 src1_sel:DWORD
	v_fmac_f16_e32 v26, v20, v32
	v_mul_f16_sdwa v32, v17, v34 dst_sel:DWORD dst_unused:UNUSED_PAD src0_sel:WORD_1 src1_sel:DWORD
	v_fma_f16 v20, v20, v59, -v33
	v_mul_f16_sdwa v33, v18, v52 dst_sel:DWORD dst_unused:UNUSED_PAD src0_sel:WORD_1 src1_sel:DWORD
	v_fmac_f16_e32 v31, v17, v34
	v_mul_f16_sdwa v34, v18, v38 dst_sel:DWORD dst_unused:UNUSED_PAD src0_sel:WORD_1 src1_sel:DWORD
	v_fma_f16 v17, v17, v60, -v32
	v_add_f16_e32 v32, v61, v62
	v_fmac_f16_e32 v33, v18, v38
	v_add_f16_e32 v38, v13, v61
	v_fma_f16 v18, v18, v52, -v34
	v_add_f16_e32 v34, v43, v24
	v_fma_f16 v13, -0.5, v32, v13
	v_sub_f16_e32 v32, v43, v24
	v_add_f16_e32 v43, v42, v43
	v_lshrrev_b32_e32 v45, 16, v14
	v_fmac_f16_e32 v42, -0.5, v34
	v_sub_f16_e32 v34, v61, v62
	v_fmamk_f16 v49, v32, 0xbaee, v13
	v_fmac_f16_e32 v13, 0x3aee, v32
	v_add_f16_e32 v32, v53, v29
	v_add_f16_e32 v24, v43, v24
	v_fmamk_f16 v43, v34, 0x3aee, v42
	v_add_f16_e32 v52, v14, v53
	v_fmac_f16_e32 v42, 0xbaee, v34
	v_add_f16_e32 v34, v15, v16
	v_fmac_f16_e32 v14, -0.5, v32
	v_sub_f16_e32 v32, v15, v16
	v_add_f16_e32 v15, v45, v15
	v_add_f16_e32 v52, v52, v29
	v_fmac_f16_e32 v45, -0.5, v34
	v_sub_f16_e32 v29, v53, v29
	v_lshrrev_b32_e32 v48, 16, v27
	v_add_f16_e32 v15, v15, v16
	v_add_f16_e32 v16, v47, v25
	v_fmamk_f16 v34, v32, 0xbaee, v14
	v_fmac_f16_e32 v14, 0x3aee, v32
	v_fmamk_f16 v32, v29, 0x3aee, v45
	v_add_f16_e32 v53, v27, v47
	v_fmac_f16_e32 v45, 0xbaee, v29
	v_add_f16_e32 v29, v21, v22
	v_fma_f16 v16, -0.5, v16, v27
	v_sub_f16_e32 v27, v21, v22
	v_add_f16_e32 v21, v48, v21
	v_add_f16_e32 v53, v53, v25
	v_fmac_f16_e32 v48, -0.5, v29
	v_sub_f16_e32 v25, v47, v25
	v_lshrrev_b32_e32 v50, 16, v28
	v_add_f16_e32 v21, v21, v22
	v_add_f16_e32 v22, v30, v26
	v_fmamk_f16 v29, v27, 0xbaee, v16
	v_fmac_f16_e32 v16, 0x3aee, v27
	v_fmamk_f16 v27, v25, 0x3aee, v48
	v_fmac_f16_e32 v48, 0xbaee, v25
	v_add_f16_e32 v25, v19, v20
	v_add_f16_e32 v47, v28, v30
	v_fmac_f16_e32 v28, -0.5, v22
	v_sub_f16_e32 v22, v19, v20
	v_add_f16_e32 v19, v50, v19
	v_fmac_f16_e32 v50, -0.5, v25
	v_sub_f16_e32 v25, v30, v26
	v_lshrrev_b32_e32 v51, 16, v23
	v_add_f16_e32 v47, v47, v26
	v_add_f16_e32 v19, v19, v20
	;; [unrolled: 1-line block ×3, first 2 shown]
	v_fmamk_f16 v26, v22, 0xbaee, v28
	v_fmac_f16_e32 v28, 0x3aee, v22
	v_fmamk_f16 v22, v25, 0x3aee, v50
	v_fmac_f16_e32 v50, 0xbaee, v25
	v_add_f16_e32 v25, v17, v18
	v_add_f16_e32 v38, v38, v62
	;; [unrolled: 1-line block ×3, first 2 shown]
	v_fmac_f16_e32 v23, -0.5, v20
	v_sub_f16_e32 v20, v17, v18
	v_add_f16_e32 v17, v51, v17
	v_fmac_f16_e32 v51, -0.5, v25
	v_sub_f16_e32 v25, v31, v33
	v_pack_b32_f16 v13, v13, v42
	v_fmamk_f16 v31, v20, 0xbaee, v23
	v_fmac_f16_e32 v23, 0x3aee, v20
	v_pack_b32_f16 v20, v38, v24
	v_pack_b32_f16 v24, v49, v43
	;; [unrolled: 1-line block ×3, first 2 shown]
	v_add_f16_e32 v17, v17, v18
	v_fmamk_f16 v18, v25, 0x3aee, v51
	v_fmac_f16_e32 v51, 0xbaee, v25
	v_pack_b32_f16 v25, v34, v32
	v_pack_b32_f16 v14, v14, v45
	v_add_f16_e32 v30, v30, v33
	v_pack_b32_f16 v21, v53, v21
	v_pack_b32_f16 v27, v29, v27
	ds_write2_b32 v46, v20, v24 offset1:34
	ds_write2_b32 v46, v13, v15 offset0:68 offset1:102
	ds_write2_b32 v46, v25, v14 offset0:136 offset1:170
	ds_write2_b32 v65, v21, v27 offset0:204 offset1:238
	v_pack_b32_f16 v13, v16, v48
	v_pack_b32_f16 v14, v47, v19
	;; [unrolled: 1-line block ×3, first 2 shown]
	v_add_nc_u32_e32 v16, 0x400, v64
	v_pack_b32_f16 v19, v28, v50
	v_pack_b32_f16 v17, v30, v17
	;; [unrolled: 1-line block ×3, first 2 shown]
	v_add_nc_u32_e32 v20, 0x400, v63
	v_pack_b32_f16 v21, v23, v51
	ds_write_b32 v65, v13 offset:1088
	ds_write2_b32 v16, v14, v15 offset0:50 offset1:84
	ds_write_b32 v64, v19 offset:1496
	ds_write2_b32 v20, v17, v18 offset0:152 offset1:186
	ds_write_b32 v63, v21 offset:1904
	s_waitcnt lgkmcnt(0)
	s_barrier
	buffer_gl0_inv
	ds_read2_b32 v[13:14], v46 offset1:34
	ds_read2_b32 v[15:16], v46 offset0:68 offset1:102
	ds_read2_b32 v[17:18], v46 offset0:204 offset1:238
	;; [unrolled: 1-line block ×6, first 2 shown]
	ds_read_b32 v27, v46 offset:1904
	s_waitcnt lgkmcnt(7)
	v_lshrrev_b32_e32 v28, 16, v13
	s_waitcnt lgkmcnt(6)
	v_lshrrev_b32_e32 v29, 16, v16
	;; [unrolled: 2-line block ×6, first 2 shown]
	v_mul_f16_sdwa v49, v8, v29 dst_sel:DWORD dst_unused:UNUSED_PAD src0_sel:WORD_1 src1_sel:DWORD
	v_lshrrev_b32_e32 v37, 16, v18
	v_mul_f16_sdwa v50, v8, v16 dst_sel:DWORD dst_unused:UNUSED_PAD src0_sel:WORD_1 src1_sel:DWORD
	v_mul_f16_sdwa v51, v9, v30 dst_sel:DWORD dst_unused:UNUSED_PAD src0_sel:WORD_1 src1_sel:DWORD
	;; [unrolled: 1-line block ×4, first 2 shown]
	v_fmac_f16_e32 v49, v8, v16
	v_mul_f16_sdwa v16, v10, v20 dst_sel:DWORD dst_unused:UNUSED_PAD src0_sel:WORD_1 src1_sel:DWORD
	s_waitcnt lgkmcnt(1)
	v_lshrrev_b32_e32 v38, 16, v25
	v_lshrrev_b32_e32 v42, 16, v22
	v_fma_f16 v8, v8, v29, -v50
	v_fmac_f16_e32 v51, v9, v17
	v_fma_f16 v9, v9, v30, -v52
	v_fmac_f16_e32 v53, v10, v20
	v_mul_f16_sdwa v17, v11, v32 dst_sel:DWORD dst_unused:UNUSED_PAD src0_sel:WORD_1 src1_sel:DWORD
	v_mul_f16_sdwa v20, v11, v21 dst_sel:DWORD dst_unused:UNUSED_PAD src0_sel:WORD_1 src1_sel:DWORD
	v_mul_f16_sdwa v29, v4, v34 dst_sel:DWORD dst_unused:UNUSED_PAD src0_sel:WORD_1 src1_sel:DWORD
	v_mul_f16_sdwa v30, v4, v23 dst_sel:DWORD dst_unused:UNUSED_PAD src0_sel:WORD_1 src1_sel:DWORD
	v_fma_f16 v10, v10, v31, -v16
	v_mul_f16_sdwa v16, v5, v37 dst_sel:DWORD dst_unused:UNUSED_PAD src0_sel:WORD_1 src1_sel:DWORD
	v_lshrrev_b32_e32 v45, 16, v24
	v_lshrrev_b32_e32 v46, 16, v19
	v_fmac_f16_e32 v17, v11, v21
	v_fma_f16 v11, v11, v32, -v20
	v_fmac_f16_e32 v29, v4, v23
	v_fma_f16 v4, v4, v34, -v30
	v_mul_f16_sdwa v20, v5, v18 dst_sel:DWORD dst_unused:UNUSED_PAD src0_sel:WORD_1 src1_sel:DWORD
	v_mul_f16_sdwa v21, v6, v38 dst_sel:DWORD dst_unused:UNUSED_PAD src0_sel:WORD_1 src1_sel:DWORD
	;; [unrolled: 1-line block ×4, first 2 shown]
	v_fmac_f16_e32 v16, v5, v18
	v_mul_f16_sdwa v18, v7, v22 dst_sel:DWORD dst_unused:UNUSED_PAD src0_sel:WORD_1 src1_sel:DWORD
	v_lshrrev_b32_e32 v47, 16, v26
	v_fma_f16 v5, v5, v37, -v20
	v_fmac_f16_e32 v21, v6, v25
	v_fma_f16 v6, v6, v38, -v23
	v_fmac_f16_e32 v30, v7, v22
	v_mul_f16_sdwa v20, v0, v45 dst_sel:DWORD dst_unused:UNUSED_PAD src0_sel:WORD_1 src1_sel:DWORD
	v_mul_f16_sdwa v22, v0, v24 dst_sel:DWORD dst_unused:UNUSED_PAD src0_sel:WORD_1 src1_sel:DWORD
	;; [unrolled: 1-line block ×4, first 2 shown]
	v_fma_f16 v7, v7, v42, -v18
	v_add_f16_e32 v18, v51, v53
	s_waitcnt lgkmcnt(0)
	v_lshrrev_b32_e32 v48, 16, v27
	v_fmac_f16_e32 v20, v0, v24
	v_fma_f16 v0, v0, v45, -v22
	v_fmac_f16_e32 v23, v1, v19
	v_fma_f16 v1, v1, v46, -v25
	v_mul_f16_sdwa v19, v2, v47 dst_sel:DWORD dst_unused:UNUSED_PAD src0_sel:WORD_1 src1_sel:DWORD
	v_mul_f16_sdwa v22, v2, v26 dst_sel:DWORD dst_unused:UNUSED_PAD src0_sel:WORD_1 src1_sel:DWORD
	v_add_f16_e32 v25, v13, v49
	v_fma_f16 v18, -0.5, v18, v13
	v_sub_f16_e32 v31, v8, v11
	v_mul_f16_sdwa v24, v3, v48 dst_sel:DWORD dst_unused:UNUSED_PAD src0_sel:WORD_1 src1_sel:DWORD
	v_fmac_f16_e32 v19, v2, v26
	v_fma_f16 v2, v2, v47, -v22
	v_add_f16_e32 v22, v25, v51
	v_fmamk_f16 v25, v31, 0xbb9c, v18
	v_sub_f16_e32 v26, v9, v10
	v_sub_f16_e32 v32, v49, v51
	;; [unrolled: 1-line block ×3, first 2 shown]
	v_add_f16_e32 v37, v49, v17
	v_fmac_f16_e32 v18, 0x3b9c, v31
	v_fmac_f16_e32 v24, v3, v27
	v_mul_f16_sdwa v27, v3, v27 dst_sel:DWORD dst_unused:UNUSED_PAD src0_sel:WORD_1 src1_sel:DWORD
	v_fmac_f16_e32 v25, 0xb8b4, v26
	v_add_f16_e32 v32, v32, v34
	v_fma_f16 v13, -0.5, v37, v13
	v_sub_f16_e32 v34, v51, v49
	v_sub_f16_e32 v37, v53, v17
	v_fmac_f16_e32 v18, 0x38b4, v26
	v_add_f16_e32 v38, v28, v8
	v_add_f16_e32 v42, v9, v10
	;; [unrolled: 1-line block ×3, first 2 shown]
	v_fma_f16 v3, v3, v48, -v27
	v_fmac_f16_e32 v25, 0x34f2, v32
	v_fmamk_f16 v27, v26, 0x3b9c, v13
	v_add_f16_e32 v34, v34, v37
	v_fmac_f16_e32 v13, 0xbb9c, v26
	v_add_f16_e32 v26, v38, v9
	v_fma_f16 v37, -0.5, v42, v28
	v_fmac_f16_e32 v18, 0x34f2, v32
	v_add_f16_e32 v32, v8, v11
	v_sub_f16_e32 v42, v8, v9
	v_sub_f16_e32 v8, v9, v8
	;; [unrolled: 1-line block ×3, first 2 shown]
	v_add_f16_e32 v22, v22, v17
	v_fmac_f16_e32 v27, 0xb8b4, v31
	v_sub_f16_e32 v17, v49, v17
	v_fmac_f16_e32 v13, 0x38b4, v31
	v_sub_f16_e32 v38, v51, v53
	v_fmac_f16_e32 v28, -0.5, v32
	v_add_f16_e32 v8, v8, v9
	v_add_f16_e32 v9, v14, v29
	v_fmac_f16_e32 v27, 0x34f2, v34
	v_add_f16_e32 v26, v26, v10
	v_fmamk_f16 v31, v17, 0x3b9c, v37
	v_sub_f16_e32 v45, v11, v10
	v_fmac_f16_e32 v13, 0x34f2, v34
	v_fmac_f16_e32 v37, 0xbb9c, v17
	v_fmamk_f16 v34, v38, 0xbb9c, v28
	v_add_f16_e32 v10, v16, v21
	v_fmac_f16_e32 v28, 0x3b9c, v38
	v_add_f16_e32 v9, v9, v16
	v_lshrrev_b32_e32 v33, 16, v14
	v_add_f16_e32 v26, v26, v11
	v_fmac_f16_e32 v31, 0x38b4, v38
	v_add_f16_e32 v32, v42, v45
	v_fmac_f16_e32 v37, 0xb8b4, v38
	v_fmac_f16_e32 v34, 0x38b4, v17
	v_fma_f16 v10, -0.5, v10, v14
	v_sub_f16_e32 v11, v4, v7
	v_sub_f16_e32 v42, v29, v16
	;; [unrolled: 1-line block ×3, first 2 shown]
	v_add_f16_e32 v46, v29, v30
	v_fmac_f16_e32 v28, 0xb8b4, v17
	v_add_f16_e32 v9, v9, v21
	v_fmac_f16_e32 v31, 0x34f2, v32
	v_fmac_f16_e32 v37, 0x34f2, v32
	;; [unrolled: 1-line block ×3, first 2 shown]
	v_fmamk_f16 v32, v11, 0xbb9c, v10
	v_sub_f16_e32 v38, v5, v6
	v_add_f16_e32 v17, v42, v45
	v_fmac_f16_e32 v14, -0.5, v46
	v_fmac_f16_e32 v28, 0x34f2, v8
	v_add_f16_e32 v8, v9, v30
	v_fmac_f16_e32 v10, 0x3b9c, v11
	v_sub_f16_e32 v42, v16, v29
	v_sub_f16_e32 v45, v21, v30
	v_add_f16_e32 v46, v33, v4
	v_add_f16_e32 v47, v5, v6
	v_sub_f16_e32 v29, v29, v30
	v_add_f16_e32 v30, v4, v7
	v_fmac_f16_e32 v32, 0xb8b4, v38
	v_fmamk_f16 v9, v38, 0x3b9c, v14
	v_fmac_f16_e32 v10, 0x38b4, v38
	v_add_f16_e32 v42, v42, v45
	v_fmac_f16_e32 v14, 0xbb9c, v38
	v_add_f16_e32 v38, v46, v5
	v_fma_f16 v45, -0.5, v47, v33
	v_sub_f16_e32 v16, v16, v21
	v_sub_f16_e32 v21, v4, v5
	v_fmac_f16_e32 v33, -0.5, v30
	v_sub_f16_e32 v4, v5, v4
	v_sub_f16_e32 v5, v6, v7
	v_fmac_f16_e32 v32, 0x34f2, v17
	v_fmac_f16_e32 v9, 0xb8b4, v11
	;; [unrolled: 1-line block ×4, first 2 shown]
	v_add_f16_e32 v11, v38, v6
	v_fmamk_f16 v17, v29, 0x3b9c, v45
	v_sub_f16_e32 v38, v7, v6
	v_fmac_f16_e32 v45, 0xbb9c, v29
	v_fmamk_f16 v30, v16, 0xbb9c, v33
	v_add_f16_e32 v4, v4, v5
	v_add_f16_e32 v5, v15, v20
	v_fmac_f16_e32 v33, 0x3b9c, v16
	v_fmac_f16_e32 v17, 0x38b4, v16
	v_add_f16_e32 v21, v21, v38
	v_add_f16_e32 v6, v23, v19
	v_fmac_f16_e32 v45, 0xb8b4, v16
	v_fmac_f16_e32 v30, 0x38b4, v29
	v_add_f16_e32 v5, v5, v23
	v_fmac_f16_e32 v33, 0xb8b4, v29
	v_add_f16_e32 v29, v20, v24
	v_lshrrev_b32_e32 v43, 16, v15
	v_fmac_f16_e32 v9, 0x34f2, v42
	v_fmac_f16_e32 v14, 0x34f2, v42
	;; [unrolled: 1-line block ×3, first 2 shown]
	v_fma_f16 v6, -0.5, v6, v15
	v_fmac_f16_e32 v45, 0x34f2, v21
	v_sub_f16_e32 v21, v1, v2
	v_sub_f16_e32 v38, v20, v23
	;; [unrolled: 1-line block ×3, first 2 shown]
	v_add_f16_e32 v5, v5, v19
	v_fmac_f16_e32 v15, -0.5, v29
	v_add_f16_e32 v11, v11, v7
	v_sub_f16_e32 v7, v0, v3
	v_fmac_f16_e32 v30, 0x34f2, v4
	v_add_f16_e32 v38, v38, v42
	v_fmac_f16_e32 v33, 0x34f2, v4
	v_add_f16_e32 v4, v5, v24
	v_fmamk_f16 v5, v21, 0x3b9c, v15
	v_sub_f16_e32 v29, v23, v20
	v_sub_f16_e32 v42, v19, v24
	v_fmac_f16_e32 v15, 0xbb9c, v21
	v_fmamk_f16 v16, v7, 0xbb9c, v6
	v_fmac_f16_e32 v6, 0x3b9c, v7
	v_fmac_f16_e32 v5, 0xb8b4, v7
	v_add_f16_e32 v29, v29, v42
	v_fmac_f16_e32 v15, 0x38b4, v7
	v_fmac_f16_e32 v16, 0xb8b4, v21
	v_fmac_f16_e32 v6, 0x38b4, v21
	v_add_f16_e32 v21, v43, v0
	v_add_f16_e32 v46, v1, v2
	v_fmac_f16_e32 v5, 0x34f2, v29
	v_fmac_f16_e32 v15, 0x34f2, v29
	v_add_f16_e32 v29, v0, v3
	v_add_f16_e32 v7, v21, v1
	v_fma_f16 v21, -0.5, v46, v43
	v_sub_f16_e32 v20, v20, v24
	v_sub_f16_e32 v19, v23, v19
	v_fmac_f16_e32 v43, -0.5, v29
	v_fmac_f16_e32 v16, 0x34f2, v38
	v_fmac_f16_e32 v6, 0x34f2, v38
	v_fmamk_f16 v24, v20, 0x3b9c, v21
	v_sub_f16_e32 v23, v0, v1
	v_sub_f16_e32 v38, v3, v2
	v_fmamk_f16 v29, v19, 0xbb9c, v43
	v_sub_f16_e32 v0, v1, v0
	v_sub_f16_e32 v1, v2, v3
	v_fmac_f16_e32 v21, 0xbb9c, v20
	v_fmac_f16_e32 v43, 0x3b9c, v19
	v_add_f16_e32 v7, v7, v2
	v_fmac_f16_e32 v24, 0x38b4, v19
	v_add_f16_e32 v23, v23, v38
	;; [unrolled: 2-line block ×3, first 2 shown]
	v_fmac_f16_e32 v21, 0xb8b4, v19
	v_fmac_f16_e32 v43, 0xb8b4, v20
	v_pack_b32_f16 v1, v22, v26
	v_add_f16_e32 v7, v7, v3
	v_pack_b32_f16 v3, v25, v31
	v_pack_b32_f16 v19, v27, v34
	;; [unrolled: 1-line block ×4, first 2 shown]
	v_add_nc_u32_e32 v2, 0x400, v44
	v_fmac_f16_e32 v24, 0x34f2, v23
	v_fmac_f16_e32 v29, 0x34f2, v0
	;; [unrolled: 1-line block ×4, first 2 shown]
	ds_write_b32 v44, v1
	ds_write2_b32 v44, v3, v19 offset0:102 offset1:204
	ds_write2_b32 v2, v13, v18 offset0:50 offset1:152
	v_pack_b32_f16 v1, v32, v17
	v_pack_b32_f16 v3, v9, v30
	;; [unrolled: 1-line block ×5, first 2 shown]
	v_add_nc_u32_e32 v10, 0x400, v36
	v_pack_b32_f16 v4, v4, v7
	v_pack_b32_f16 v7, v16, v24
	;; [unrolled: 1-line block ×5, first 2 shown]
	v_add_nc_u32_e32 v13, 0x400, v35
	ds_write2_b32 v36, v1, v3 offset0:102 offset1:204
	ds_write2_b32 v10, v8, v9 offset0:50 offset1:152
	;; [unrolled: 1-line block ×5, first 2 shown]
	s_waitcnt lgkmcnt(0)
	s_barrier
	buffer_gl0_inv
	s_and_b32 exec_lo, exec_lo, vcc_lo
	s_cbranch_execz .LBB0_23
; %bb.22:
	global_load_dword v0, v40, s[12:13]
	ds_read_b32 v1, v44
	s_mov_b32 s8, 0x10101010
	s_mov_b32 s9, 0x3f601010
	v_mad_u64_u32 v[7:8], null, s4, v41, 0
	s_mul_hi_u32 s3, s4, 0x78
	s_waitcnt lgkmcnt(0)
	v_lshrrev_b32_e32 v3, 16, v1
	s_waitcnt vmcnt(0)
	v_mul_f16_sdwa v4, v3, v0 dst_sel:DWORD dst_unused:UNUSED_PAD src0_sel:DWORD src1_sel:WORD_1
	v_mul_f16_sdwa v5, v1, v0 dst_sel:DWORD dst_unused:UNUSED_PAD src0_sel:DWORD src1_sel:WORD_1
	v_fmac_f16_e32 v4, v1, v0
	v_fma_f16 v0, v0, v3, -v5
	v_mad_u64_u32 v[5:6], null, s6, v12, 0
	s_mul_i32 s6, s4, 0x78
	v_cvt_f32_f16_e32 v1, v4
	v_cvt_f32_f16_e32 v3, v0
	v_cvt_f64_f32_e32 v[0:1], v1
	v_cvt_f64_f32_e32 v[3:4], v3
	v_mul_f64 v[0:1], v[0:1], s[8:9]
	v_mul_f64 v[3:4], v[3:4], s[8:9]
	v_and_or_b32 v0, 0x1ff, v1, v0
	v_and_or_b32 v3, 0x1ff, v4, v3
	v_lshrrev_b32_e32 v9, 8, v1
	v_bfe_u32 v11, v1, 20, 11
	v_bfe_u32 v13, v4, 20, 11
	v_cmp_ne_u32_e32 vcc_lo, 0, v0
	v_lshrrev_b32_e32 v10, 8, v4
	v_mov_b32_e32 v0, v8
	v_sub_nc_u32_e32 v15, 0x3f1, v11
	v_sub_nc_u32_e32 v16, 0x3f1, v13
	v_cndmask_b32_e64 v14, 0, 1, vcc_lo
	v_cmp_ne_u32_e32 vcc_lo, 0, v3
	v_add_nc_u32_e32 v11, 0xfffffc10, v11
	v_add_nc_u32_e32 v13, 0xfffffc10, v13
	v_lshrrev_b32_e32 v4, 16, v4
	v_and_or_b32 v14, 0xffe, v9, v14
	v_cndmask_b32_e64 v3, 0, 1, vcc_lo
	v_mad_u64_u32 v[8:9], null, s7, v12, v[6:7]
	v_med3_i32 v12, v15, 0, 13
	v_med3_i32 v15, v16, 0, 13
	v_and_or_b32 v3, 0xffe, v10, v3
	v_or_b32_e32 v16, 0x1000, v14
	v_mad_u64_u32 v[9:10], null, s5, v41, v[0:1]
	v_mov_b32_e32 v6, v8
	v_or_b32_e32 v17, 0x1000, v3
	v_lshrrev_b32_e32 v0, v12, v16
	v_lshrrev_b32_e32 v1, 16, v1
	v_lshlrev_b64 v[5:6], 2, v[5:6]
	v_lshrrev_b32_e32 v10, v15, v17
	v_lshlrev_b32_e32 v12, v12, v0
	v_mov_b32_e32 v8, v9
	v_lshlrev_b32_e32 v9, v15, v10
	v_cmp_ne_u32_e32 vcc_lo, v12, v16
	v_lshl_or_b32 v15, v11, 12, v14
	v_lshlrev_b64 v[7:8], 2, v[7:8]
	v_cndmask_b32_e64 v12, 0, 1, vcc_lo
	v_cmp_ne_u32_e32 vcc_lo, v9, v17
	v_or_b32_e32 v0, v0, v12
	v_cndmask_b32_e64 v9, 0, 1, vcc_lo
	v_cmp_gt_i32_e32 vcc_lo, 1, v11
	v_lshl_or_b32 v12, v13, 12, v3
	v_or_b32_e32 v9, v10, v9
	v_cndmask_b32_e32 v0, v15, v0, vcc_lo
	v_cmp_gt_i32_e32 vcc_lo, 1, v13
	v_cndmask_b32_e32 v9, v12, v9, vcc_lo
	v_cmp_ne_u32_e32 vcc_lo, 0, v14
	v_and_b32_e32 v12, 7, v0
	v_lshrrev_b32_e32 v0, 2, v0
	v_and_b32_e32 v14, 7, v9
	v_cndmask_b32_e64 v10, 0, 1, vcc_lo
	v_cmp_ne_u32_e32 vcc_lo, 0, v3
	v_cmp_eq_u32_e64 s0, 3, v12
	v_lshrrev_b32_e32 v9, 2, v9
	v_cmp_lt_i32_e64 s1, 5, v14
	v_cmp_eq_u32_e64 s2, 3, v14
	v_cndmask_b32_e64 v3, 0, 1, vcc_lo
	v_cmp_lt_i32_e32 vcc_lo, 5, v12
	v_lshl_or_b32 v10, v10, 9, 0x7c00
	v_lshl_or_b32 v3, v3, 9, 0x7c00
	s_or_b32 vcc_lo, s0, vcc_lo
	v_add_co_ci_u32_e32 v0, vcc_lo, 0, v0, vcc_lo
	s_or_b32 vcc_lo, s2, s1
	v_add_co_ci_u32_e32 v9, vcc_lo, 0, v9, vcc_lo
	v_cmp_gt_i32_e32 vcc_lo, 31, v11
	v_cndmask_b32_e32 v0, 0x7c00, v0, vcc_lo
	v_cmp_gt_i32_e32 vcc_lo, 31, v13
	v_cndmask_b32_e32 v9, 0x7c00, v9, vcc_lo
	v_cmp_eq_u32_e32 vcc_lo, 0x40f, v11
	v_cndmask_b32_e32 v0, v0, v10, vcc_lo
	v_cmp_eq_u32_e32 vcc_lo, 0x40f, v13
	v_cndmask_b32_e32 v3, v9, v3, vcc_lo
	v_and_or_b32 v9, 0x8000, v1, v0
	v_add_co_u32 v0, vcc_lo, s14, v5
	v_add_co_ci_u32_e32 v1, vcc_lo, s15, v6, vcc_lo
	v_and_or_b32 v5, 0x8000, v4, v3
	v_and_b32_e32 v6, 0xffff, v9
	v_add_co_u32 v3, vcc_lo, v0, v7
	v_add_co_ci_u32_e32 v4, vcc_lo, v1, v8, vcc_lo
	v_lshl_or_b32 v5, v5, 16, v6
	global_store_dword v[3:4], v5, off
	global_load_dword v7, v40, s[12:13] offset:120
	ds_read2_b32 v[5:6], v44 offset0:30 offset1:60
	s_waitcnt lgkmcnt(0)
	v_lshrrev_b32_e32 v8, 16, v5
	s_waitcnt vmcnt(0)
	v_mul_f16_sdwa v9, v8, v7 dst_sel:DWORD dst_unused:UNUSED_PAD src0_sel:DWORD src1_sel:WORD_1
	v_mul_f16_sdwa v10, v5, v7 dst_sel:DWORD dst_unused:UNUSED_PAD src0_sel:DWORD src1_sel:WORD_1
	v_fmac_f16_e32 v9, v5, v7
	v_fma_f16 v5, v7, v8, -v10
	v_cvt_f32_f16_e32 v7, v9
	v_cvt_f32_f16_e32 v5, v5
	v_cvt_f64_f32_e32 v[7:8], v7
	v_cvt_f64_f32_e32 v[9:10], v5
	v_mul_f64 v[7:8], v[7:8], s[8:9]
	v_mul_f64 v[9:10], v[9:10], s[8:9]
	v_and_or_b32 v5, 0x1ff, v8, v7
	v_and_or_b32 v9, 0x1ff, v10, v9
	v_lshrrev_b32_e32 v7, 8, v8
	v_bfe_u32 v11, v8, 20, 11
	v_lshrrev_b32_e32 v12, 8, v10
	v_cmp_ne_u32_e32 vcc_lo, 0, v5
	v_bfe_u32 v13, v10, 20, 11
	v_lshrrev_b32_e32 v8, 16, v8
	v_sub_nc_u32_e32 v14, 0x3f1, v11
	v_add_nc_u32_e32 v11, 0xfffffc10, v11
	v_cndmask_b32_e64 v5, 0, 1, vcc_lo
	v_cmp_ne_u32_e32 vcc_lo, 0, v9
	v_lshrrev_b32_e32 v10, 16, v10
	v_and_or_b32 v5, 0xffe, v7, v5
	v_cndmask_b32_e64 v9, 0, 1, vcc_lo
	v_sub_nc_u32_e32 v7, 0x3f1, v13
	v_add_nc_u32_e32 v13, 0xfffffc10, v13
	v_and_or_b32 v9, 0xffe, v12, v9
	v_med3_i32 v12, v14, 0, 13
	v_or_b32_e32 v14, 0x1000, v5
	v_med3_i32 v7, v7, 0, 13
	v_or_b32_e32 v15, 0x1000, v9
	v_lshrrev_b32_e32 v16, v12, v14
	v_lshrrev_b32_e32 v17, v7, v15
	v_lshlrev_b32_e32 v12, v12, v16
	v_lshlrev_b32_e32 v7, v7, v17
	v_cmp_ne_u32_e32 vcc_lo, v12, v14
	v_lshl_or_b32 v14, v11, 12, v5
	v_cndmask_b32_e64 v12, 0, 1, vcc_lo
	v_cmp_ne_u32_e32 vcc_lo, v7, v15
	v_lshl_or_b32 v15, v13, 12, v9
	v_or_b32_e32 v12, v16, v12
	v_cndmask_b32_e64 v7, 0, 1, vcc_lo
	v_cmp_gt_i32_e32 vcc_lo, 1, v11
	v_or_b32_e32 v7, v17, v7
	v_cndmask_b32_e32 v12, v14, v12, vcc_lo
	v_cmp_gt_i32_e32 vcc_lo, 1, v13
	v_and_b32_e32 v14, 7, v12
	v_cndmask_b32_e32 v7, v15, v7, vcc_lo
	v_cmp_ne_u32_e32 vcc_lo, 0, v5
	v_lshrrev_b32_e32 v12, 2, v12
	v_cmp_eq_u32_e64 s0, 3, v14
	v_and_b32_e32 v15, 7, v7
	v_cndmask_b32_e64 v5, 0, 1, vcc_lo
	v_cmp_ne_u32_e32 vcc_lo, 0, v9
	v_lshrrev_b32_e32 v7, 2, v7
	v_cmp_lt_i32_e64 s1, 5, v15
	v_cmp_eq_u32_e64 s2, 3, v15
	v_cndmask_b32_e64 v9, 0, 1, vcc_lo
	v_cmp_lt_i32_e32 vcc_lo, 5, v14
	v_lshl_or_b32 v5, v5, 9, 0x7c00
	v_lshl_or_b32 v9, v9, 9, 0x7c00
	s_or_b32 vcc_lo, s0, vcc_lo
	s_mul_i32 s0, s5, 0x78
	v_add_co_ci_u32_e32 v12, vcc_lo, 0, v12, vcc_lo
	s_or_b32 vcc_lo, s2, s1
	s_add_i32 s3, s3, s0
	v_add_co_ci_u32_e32 v7, vcc_lo, 0, v7, vcc_lo
	v_cmp_gt_i32_e32 vcc_lo, 31, v11
	v_cndmask_b32_e32 v12, 0x7c00, v12, vcc_lo
	v_cmp_gt_i32_e32 vcc_lo, 31, v13
	v_cndmask_b32_e32 v7, 0x7c00, v7, vcc_lo
	v_cmp_eq_u32_e32 vcc_lo, 0x40f, v11
	v_cndmask_b32_e32 v5, v12, v5, vcc_lo
	v_cmp_eq_u32_e32 vcc_lo, 0x40f, v13
	v_and_or_b32 v5, 0x8000, v8, v5
	v_cndmask_b32_e32 v7, v7, v9, vcc_lo
	v_add_co_u32 v3, vcc_lo, v3, s6
	v_add_co_ci_u32_e32 v4, vcc_lo, s3, v4, vcc_lo
	v_and_or_b32 v7, 0x8000, v10, v7
	v_and_b32_e32 v5, 0xffff, v5
	v_lshl_or_b32 v5, v7, 16, v5
	v_lshrrev_b32_e32 v7, 16, v6
	global_store_dword v[3:4], v5, off
	global_load_dword v5, v40, s[12:13] offset:240
	s_waitcnt vmcnt(0)
	v_mul_f16_sdwa v8, v7, v5 dst_sel:DWORD dst_unused:UNUSED_PAD src0_sel:DWORD src1_sel:WORD_1
	v_mul_f16_sdwa v9, v6, v5 dst_sel:DWORD dst_unused:UNUSED_PAD src0_sel:DWORD src1_sel:WORD_1
	v_fmac_f16_e32 v8, v6, v5
	v_fma_f16 v5, v5, v7, -v9
	v_cvt_f32_f16_e32 v6, v8
	v_cvt_f32_f16_e32 v7, v5
	v_cvt_f64_f32_e32 v[5:6], v6
	v_cvt_f64_f32_e32 v[7:8], v7
	v_mul_f64 v[5:6], v[5:6], s[8:9]
	v_mul_f64 v[7:8], v[7:8], s[8:9]
	v_and_or_b32 v5, 0x1ff, v6, v5
	v_and_or_b32 v7, 0x1ff, v8, v7
	v_lshrrev_b32_e32 v9, 8, v6
	v_bfe_u32 v10, v6, 20, 11
	v_lshrrev_b32_e32 v11, 8, v8
	v_cmp_ne_u32_e32 vcc_lo, 0, v5
	v_bfe_u32 v12, v8, 20, 11
	v_lshrrev_b32_e32 v6, 16, v6
	v_sub_nc_u32_e32 v13, 0x3f1, v10
	v_add_nc_u32_e32 v10, 0xfffffc10, v10
	v_cndmask_b32_e64 v5, 0, 1, vcc_lo
	v_cmp_ne_u32_e32 vcc_lo, 0, v7
	v_lshrrev_b32_e32 v8, 16, v8
	v_and_or_b32 v5, 0xffe, v9, v5
	v_cndmask_b32_e64 v7, 0, 1, vcc_lo
	v_sub_nc_u32_e32 v9, 0x3f1, v12
	v_add_nc_u32_e32 v12, 0xfffffc10, v12
	v_and_or_b32 v7, 0xffe, v11, v7
	v_med3_i32 v11, v13, 0, 13
	v_or_b32_e32 v13, 0x1000, v5
	v_med3_i32 v9, v9, 0, 13
	v_or_b32_e32 v14, 0x1000, v7
	v_lshrrev_b32_e32 v15, v11, v13
	v_lshrrev_b32_e32 v16, v9, v14
	v_lshlrev_b32_e32 v11, v11, v15
	v_lshlrev_b32_e32 v9, v9, v16
	v_cmp_ne_u32_e32 vcc_lo, v11, v13
	v_lshl_or_b32 v13, v10, 12, v5
	v_cndmask_b32_e64 v11, 0, 1, vcc_lo
	v_cmp_ne_u32_e32 vcc_lo, v9, v14
	v_lshl_or_b32 v14, v12, 12, v7
	v_or_b32_e32 v11, v15, v11
	v_cndmask_b32_e64 v9, 0, 1, vcc_lo
	v_cmp_gt_i32_e32 vcc_lo, 1, v10
	v_or_b32_e32 v9, v16, v9
	v_cndmask_b32_e32 v11, v13, v11, vcc_lo
	v_cmp_gt_i32_e32 vcc_lo, 1, v12
	v_and_b32_e32 v13, 7, v11
	v_cndmask_b32_e32 v9, v14, v9, vcc_lo
	v_cmp_ne_u32_e32 vcc_lo, 0, v5
	v_lshrrev_b32_e32 v11, 2, v11
	v_cmp_eq_u32_e64 s0, 3, v13
	v_and_b32_e32 v14, 7, v9
	v_cndmask_b32_e64 v5, 0, 1, vcc_lo
	v_cmp_ne_u32_e32 vcc_lo, 0, v7
	v_lshrrev_b32_e32 v9, 2, v9
	v_cmp_lt_i32_e64 s1, 5, v14
	v_cmp_eq_u32_e64 s2, 3, v14
	v_cndmask_b32_e64 v7, 0, 1, vcc_lo
	v_cmp_lt_i32_e32 vcc_lo, 5, v13
	v_lshl_or_b32 v5, v5, 9, 0x7c00
	v_lshl_or_b32 v7, v7, 9, 0x7c00
	s_or_b32 vcc_lo, s0, vcc_lo
	v_add_co_ci_u32_e32 v11, vcc_lo, 0, v11, vcc_lo
	s_or_b32 vcc_lo, s2, s1
	v_add_co_ci_u32_e32 v9, vcc_lo, 0, v9, vcc_lo
	v_cmp_gt_i32_e32 vcc_lo, 31, v10
	v_cndmask_b32_e32 v11, 0x7c00, v11, vcc_lo
	v_cmp_gt_i32_e32 vcc_lo, 31, v12
	v_cndmask_b32_e32 v9, 0x7c00, v9, vcc_lo
	v_cmp_eq_u32_e32 vcc_lo, 0x40f, v10
	v_cndmask_b32_e32 v5, v11, v5, vcc_lo
	v_cmp_eq_u32_e32 vcc_lo, 0x40f, v12
	v_and_or_b32 v5, 0x8000, v6, v5
	v_cndmask_b32_e32 v7, v9, v7, vcc_lo
	v_add_co_u32 v3, vcc_lo, v3, s6
	v_add_co_ci_u32_e32 v4, vcc_lo, s3, v4, vcc_lo
	v_and_or_b32 v6, 0x8000, v8, v7
	v_and_b32_e32 v5, 0xffff, v5
	v_lshl_or_b32 v5, v6, 16, v5
	global_store_dword v[3:4], v5, off
	global_load_dword v7, v40, s[12:13] offset:360
	ds_read2_b32 v[5:6], v44 offset0:90 offset1:120
	s_waitcnt lgkmcnt(0)
	v_lshrrev_b32_e32 v8, 16, v5
	s_waitcnt vmcnt(0)
	v_mul_f16_sdwa v9, v8, v7 dst_sel:DWORD dst_unused:UNUSED_PAD src0_sel:DWORD src1_sel:WORD_1
	v_mul_f16_sdwa v10, v5, v7 dst_sel:DWORD dst_unused:UNUSED_PAD src0_sel:DWORD src1_sel:WORD_1
	v_fmac_f16_e32 v9, v5, v7
	v_fma_f16 v5, v7, v8, -v10
	v_cvt_f32_f16_e32 v7, v9
	v_cvt_f32_f16_e32 v5, v5
	v_cvt_f64_f32_e32 v[7:8], v7
	v_cvt_f64_f32_e32 v[9:10], v5
	v_mul_f64 v[7:8], v[7:8], s[8:9]
	v_mul_f64 v[9:10], v[9:10], s[8:9]
	v_and_or_b32 v5, 0x1ff, v8, v7
	v_and_or_b32 v9, 0x1ff, v10, v9
	v_lshrrev_b32_e32 v7, 8, v8
	v_bfe_u32 v11, v8, 20, 11
	v_lshrrev_b32_e32 v12, 8, v10
	v_cmp_ne_u32_e32 vcc_lo, 0, v5
	v_bfe_u32 v13, v10, 20, 11
	v_lshrrev_b32_e32 v8, 16, v8
	v_sub_nc_u32_e32 v14, 0x3f1, v11
	v_add_nc_u32_e32 v11, 0xfffffc10, v11
	v_cndmask_b32_e64 v5, 0, 1, vcc_lo
	v_cmp_ne_u32_e32 vcc_lo, 0, v9
	v_lshrrev_b32_e32 v10, 16, v10
	v_and_or_b32 v5, 0xffe, v7, v5
	v_cndmask_b32_e64 v9, 0, 1, vcc_lo
	v_sub_nc_u32_e32 v7, 0x3f1, v13
	v_add_nc_u32_e32 v13, 0xfffffc10, v13
	v_and_or_b32 v9, 0xffe, v12, v9
	v_med3_i32 v12, v14, 0, 13
	v_or_b32_e32 v14, 0x1000, v5
	v_med3_i32 v7, v7, 0, 13
	v_or_b32_e32 v15, 0x1000, v9
	v_lshrrev_b32_e32 v16, v12, v14
	v_lshrrev_b32_e32 v17, v7, v15
	v_lshlrev_b32_e32 v12, v12, v16
	v_lshlrev_b32_e32 v7, v7, v17
	v_cmp_ne_u32_e32 vcc_lo, v12, v14
	v_lshl_or_b32 v14, v11, 12, v5
	v_cndmask_b32_e64 v12, 0, 1, vcc_lo
	v_cmp_ne_u32_e32 vcc_lo, v7, v15
	v_lshl_or_b32 v15, v13, 12, v9
	v_or_b32_e32 v12, v16, v12
	v_cndmask_b32_e64 v7, 0, 1, vcc_lo
	v_cmp_gt_i32_e32 vcc_lo, 1, v11
	v_or_b32_e32 v7, v17, v7
	v_cndmask_b32_e32 v12, v14, v12, vcc_lo
	v_cmp_gt_i32_e32 vcc_lo, 1, v13
	v_and_b32_e32 v14, 7, v12
	v_cndmask_b32_e32 v7, v15, v7, vcc_lo
	v_cmp_ne_u32_e32 vcc_lo, 0, v5
	v_lshrrev_b32_e32 v12, 2, v12
	v_cmp_eq_u32_e64 s0, 3, v14
	v_and_b32_e32 v15, 7, v7
	v_cndmask_b32_e64 v5, 0, 1, vcc_lo
	v_cmp_ne_u32_e32 vcc_lo, 0, v9
	v_lshrrev_b32_e32 v7, 2, v7
	v_cmp_lt_i32_e64 s1, 5, v15
	v_cmp_eq_u32_e64 s2, 3, v15
	v_cndmask_b32_e64 v9, 0, 1, vcc_lo
	v_cmp_lt_i32_e32 vcc_lo, 5, v14
	v_lshl_or_b32 v5, v5, 9, 0x7c00
	v_lshl_or_b32 v9, v9, 9, 0x7c00
	s_or_b32 vcc_lo, s0, vcc_lo
	v_add_co_ci_u32_e32 v12, vcc_lo, 0, v12, vcc_lo
	s_or_b32 vcc_lo, s2, s1
	v_add_co_ci_u32_e32 v7, vcc_lo, 0, v7, vcc_lo
	v_cmp_gt_i32_e32 vcc_lo, 31, v11
	v_cndmask_b32_e32 v12, 0x7c00, v12, vcc_lo
	v_cmp_gt_i32_e32 vcc_lo, 31, v13
	v_cndmask_b32_e32 v7, 0x7c00, v7, vcc_lo
	v_cmp_eq_u32_e32 vcc_lo, 0x40f, v11
	v_cndmask_b32_e32 v5, v12, v5, vcc_lo
	v_cmp_eq_u32_e32 vcc_lo, 0x40f, v13
	v_and_or_b32 v5, 0x8000, v8, v5
	v_cndmask_b32_e32 v7, v7, v9, vcc_lo
	v_add_co_u32 v3, vcc_lo, v3, s6
	v_add_co_ci_u32_e32 v4, vcc_lo, s3, v4, vcc_lo
	v_and_or_b32 v7, 0x8000, v10, v7
	v_and_b32_e32 v5, 0xffff, v5
	v_lshl_or_b32 v5, v7, 16, v5
	v_lshrrev_b32_e32 v7, 16, v6
	global_store_dword v[3:4], v5, off
	global_load_dword v5, v40, s[12:13] offset:480
	s_waitcnt vmcnt(0)
	v_mul_f16_sdwa v8, v7, v5 dst_sel:DWORD dst_unused:UNUSED_PAD src0_sel:DWORD src1_sel:WORD_1
	v_mul_f16_sdwa v9, v6, v5 dst_sel:DWORD dst_unused:UNUSED_PAD src0_sel:DWORD src1_sel:WORD_1
	v_fmac_f16_e32 v8, v6, v5
	v_fma_f16 v5, v5, v7, -v9
	v_cvt_f32_f16_e32 v6, v8
	v_cvt_f32_f16_e32 v7, v5
	v_cvt_f64_f32_e32 v[5:6], v6
	v_cvt_f64_f32_e32 v[7:8], v7
	v_mul_f64 v[5:6], v[5:6], s[8:9]
	v_mul_f64 v[7:8], v[7:8], s[8:9]
	v_and_or_b32 v5, 0x1ff, v6, v5
	v_and_or_b32 v7, 0x1ff, v8, v7
	v_lshrrev_b32_e32 v9, 8, v6
	v_bfe_u32 v10, v6, 20, 11
	v_lshrrev_b32_e32 v11, 8, v8
	v_cmp_ne_u32_e32 vcc_lo, 0, v5
	v_bfe_u32 v12, v8, 20, 11
	v_lshrrev_b32_e32 v6, 16, v6
	v_sub_nc_u32_e32 v13, 0x3f1, v10
	v_add_nc_u32_e32 v10, 0xfffffc10, v10
	v_cndmask_b32_e64 v5, 0, 1, vcc_lo
	v_cmp_ne_u32_e32 vcc_lo, 0, v7
	v_lshrrev_b32_e32 v8, 16, v8
	v_and_or_b32 v5, 0xffe, v9, v5
	v_cndmask_b32_e64 v7, 0, 1, vcc_lo
	v_sub_nc_u32_e32 v9, 0x3f1, v12
	v_add_nc_u32_e32 v12, 0xfffffc10, v12
	v_and_or_b32 v7, 0xffe, v11, v7
	v_med3_i32 v11, v13, 0, 13
	v_or_b32_e32 v13, 0x1000, v5
	v_med3_i32 v9, v9, 0, 13
	v_or_b32_e32 v14, 0x1000, v7
	v_lshrrev_b32_e32 v15, v11, v13
	v_lshrrev_b32_e32 v16, v9, v14
	v_lshlrev_b32_e32 v11, v11, v15
	v_lshlrev_b32_e32 v9, v9, v16
	v_cmp_ne_u32_e32 vcc_lo, v11, v13
	v_lshl_or_b32 v13, v10, 12, v5
	v_cndmask_b32_e64 v11, 0, 1, vcc_lo
	v_cmp_ne_u32_e32 vcc_lo, v9, v14
	v_lshl_or_b32 v14, v12, 12, v7
	v_or_b32_e32 v11, v15, v11
	v_cndmask_b32_e64 v9, 0, 1, vcc_lo
	v_cmp_gt_i32_e32 vcc_lo, 1, v10
	v_or_b32_e32 v9, v16, v9
	v_cndmask_b32_e32 v11, v13, v11, vcc_lo
	v_cmp_gt_i32_e32 vcc_lo, 1, v12
	v_and_b32_e32 v13, 7, v11
	v_cndmask_b32_e32 v9, v14, v9, vcc_lo
	v_cmp_ne_u32_e32 vcc_lo, 0, v5
	v_lshrrev_b32_e32 v11, 2, v11
	v_cmp_eq_u32_e64 s0, 3, v13
	v_and_b32_e32 v14, 7, v9
	v_cndmask_b32_e64 v5, 0, 1, vcc_lo
	v_cmp_ne_u32_e32 vcc_lo, 0, v7
	v_lshrrev_b32_e32 v9, 2, v9
	v_cmp_lt_i32_e64 s1, 5, v14
	v_cmp_eq_u32_e64 s2, 3, v14
	v_cndmask_b32_e64 v7, 0, 1, vcc_lo
	v_cmp_lt_i32_e32 vcc_lo, 5, v13
	v_lshl_or_b32 v5, v5, 9, 0x7c00
	v_lshl_or_b32 v7, v7, 9, 0x7c00
	s_or_b32 vcc_lo, s0, vcc_lo
	v_add_co_ci_u32_e32 v11, vcc_lo, 0, v11, vcc_lo
	s_or_b32 vcc_lo, s2, s1
	v_add_co_ci_u32_e32 v9, vcc_lo, 0, v9, vcc_lo
	v_cmp_gt_i32_e32 vcc_lo, 31, v10
	v_cndmask_b32_e32 v11, 0x7c00, v11, vcc_lo
	v_cmp_gt_i32_e32 vcc_lo, 31, v12
	v_cndmask_b32_e32 v9, 0x7c00, v9, vcc_lo
	v_cmp_eq_u32_e32 vcc_lo, 0x40f, v10
	v_cndmask_b32_e32 v5, v11, v5, vcc_lo
	v_cmp_eq_u32_e32 vcc_lo, 0x40f, v12
	v_and_or_b32 v5, 0x8000, v6, v5
	v_cndmask_b32_e32 v7, v9, v7, vcc_lo
	v_add_co_u32 v3, vcc_lo, v3, s6
	v_add_co_ci_u32_e32 v4, vcc_lo, s3, v4, vcc_lo
	v_and_or_b32 v6, 0x8000, v8, v7
	v_and_b32_e32 v5, 0xffff, v5
	v_lshl_or_b32 v5, v6, 16, v5
	global_store_dword v[3:4], v5, off
	global_load_dword v7, v40, s[12:13] offset:600
	ds_read2_b32 v[5:6], v44 offset0:150 offset1:180
	s_waitcnt lgkmcnt(0)
	v_lshrrev_b32_e32 v8, 16, v5
	s_waitcnt vmcnt(0)
	v_mul_f16_sdwa v9, v8, v7 dst_sel:DWORD dst_unused:UNUSED_PAD src0_sel:DWORD src1_sel:WORD_1
	v_mul_f16_sdwa v10, v5, v7 dst_sel:DWORD dst_unused:UNUSED_PAD src0_sel:DWORD src1_sel:WORD_1
	v_fmac_f16_e32 v9, v5, v7
	v_fma_f16 v5, v7, v8, -v10
	v_cvt_f32_f16_e32 v7, v9
	v_cvt_f32_f16_e32 v5, v5
	v_cvt_f64_f32_e32 v[7:8], v7
	v_cvt_f64_f32_e32 v[9:10], v5
	v_mul_f64 v[7:8], v[7:8], s[8:9]
	v_mul_f64 v[9:10], v[9:10], s[8:9]
	v_and_or_b32 v5, 0x1ff, v8, v7
	v_and_or_b32 v9, 0x1ff, v10, v9
	v_lshrrev_b32_e32 v7, 8, v8
	v_bfe_u32 v11, v8, 20, 11
	v_lshrrev_b32_e32 v12, 8, v10
	v_cmp_ne_u32_e32 vcc_lo, 0, v5
	v_bfe_u32 v13, v10, 20, 11
	v_lshrrev_b32_e32 v8, 16, v8
	v_sub_nc_u32_e32 v14, 0x3f1, v11
	v_add_nc_u32_e32 v11, 0xfffffc10, v11
	v_cndmask_b32_e64 v5, 0, 1, vcc_lo
	v_cmp_ne_u32_e32 vcc_lo, 0, v9
	v_lshrrev_b32_e32 v10, 16, v10
	v_and_or_b32 v5, 0xffe, v7, v5
	v_cndmask_b32_e64 v9, 0, 1, vcc_lo
	v_sub_nc_u32_e32 v7, 0x3f1, v13
	v_add_nc_u32_e32 v13, 0xfffffc10, v13
	v_and_or_b32 v9, 0xffe, v12, v9
	v_med3_i32 v12, v14, 0, 13
	v_or_b32_e32 v14, 0x1000, v5
	v_med3_i32 v7, v7, 0, 13
	v_or_b32_e32 v15, 0x1000, v9
	v_lshrrev_b32_e32 v16, v12, v14
	v_lshrrev_b32_e32 v17, v7, v15
	v_lshlrev_b32_e32 v12, v12, v16
	v_lshlrev_b32_e32 v7, v7, v17
	v_cmp_ne_u32_e32 vcc_lo, v12, v14
	v_lshl_or_b32 v14, v11, 12, v5
	v_cndmask_b32_e64 v12, 0, 1, vcc_lo
	v_cmp_ne_u32_e32 vcc_lo, v7, v15
	v_lshl_or_b32 v15, v13, 12, v9
	v_or_b32_e32 v12, v16, v12
	v_cndmask_b32_e64 v7, 0, 1, vcc_lo
	v_cmp_gt_i32_e32 vcc_lo, 1, v11
	v_or_b32_e32 v7, v17, v7
	v_cndmask_b32_e32 v12, v14, v12, vcc_lo
	v_cmp_gt_i32_e32 vcc_lo, 1, v13
	v_and_b32_e32 v14, 7, v12
	v_cndmask_b32_e32 v7, v15, v7, vcc_lo
	v_cmp_ne_u32_e32 vcc_lo, 0, v5
	v_lshrrev_b32_e32 v12, 2, v12
	v_cmp_eq_u32_e64 s0, 3, v14
	v_and_b32_e32 v15, 7, v7
	v_cndmask_b32_e64 v5, 0, 1, vcc_lo
	v_cmp_ne_u32_e32 vcc_lo, 0, v9
	v_lshrrev_b32_e32 v7, 2, v7
	v_cmp_lt_i32_e64 s1, 5, v15
	v_cmp_eq_u32_e64 s2, 3, v15
	v_cndmask_b32_e64 v9, 0, 1, vcc_lo
	v_cmp_lt_i32_e32 vcc_lo, 5, v14
	v_lshl_or_b32 v5, v5, 9, 0x7c00
	v_lshl_or_b32 v9, v9, 9, 0x7c00
	s_or_b32 vcc_lo, s0, vcc_lo
	v_add_co_ci_u32_e32 v12, vcc_lo, 0, v12, vcc_lo
	s_or_b32 vcc_lo, s2, s1
	v_add_co_ci_u32_e32 v7, vcc_lo, 0, v7, vcc_lo
	v_cmp_gt_i32_e32 vcc_lo, 31, v11
	v_cndmask_b32_e32 v12, 0x7c00, v12, vcc_lo
	v_cmp_gt_i32_e32 vcc_lo, 31, v13
	v_cndmask_b32_e32 v7, 0x7c00, v7, vcc_lo
	v_cmp_eq_u32_e32 vcc_lo, 0x40f, v11
	v_cndmask_b32_e32 v5, v12, v5, vcc_lo
	v_cmp_eq_u32_e32 vcc_lo, 0x40f, v13
	v_and_or_b32 v5, 0x8000, v8, v5
	v_cndmask_b32_e32 v7, v7, v9, vcc_lo
	v_add_co_u32 v3, vcc_lo, v3, s6
	v_add_co_ci_u32_e32 v4, vcc_lo, s3, v4, vcc_lo
	v_and_or_b32 v7, 0x8000, v10, v7
	v_and_b32_e32 v5, 0xffff, v5
	v_lshl_or_b32 v5, v7, 16, v5
	v_lshrrev_b32_e32 v7, 16, v6
	global_store_dword v[3:4], v5, off
	global_load_dword v5, v40, s[12:13] offset:720
	s_waitcnt vmcnt(0)
	v_mul_f16_sdwa v8, v7, v5 dst_sel:DWORD dst_unused:UNUSED_PAD src0_sel:DWORD src1_sel:WORD_1
	v_mul_f16_sdwa v9, v6, v5 dst_sel:DWORD dst_unused:UNUSED_PAD src0_sel:DWORD src1_sel:WORD_1
	v_fmac_f16_e32 v8, v6, v5
	v_fma_f16 v5, v5, v7, -v9
	v_cvt_f32_f16_e32 v6, v8
	v_cvt_f32_f16_e32 v7, v5
	v_cvt_f64_f32_e32 v[5:6], v6
	v_cvt_f64_f32_e32 v[7:8], v7
	v_mul_f64 v[5:6], v[5:6], s[8:9]
	v_mul_f64 v[7:8], v[7:8], s[8:9]
	v_and_or_b32 v5, 0x1ff, v6, v5
	v_and_or_b32 v7, 0x1ff, v8, v7
	v_lshrrev_b32_e32 v9, 8, v6
	v_bfe_u32 v10, v6, 20, 11
	v_lshrrev_b32_e32 v11, 8, v8
	v_cmp_ne_u32_e32 vcc_lo, 0, v5
	v_bfe_u32 v12, v8, 20, 11
	v_lshrrev_b32_e32 v6, 16, v6
	v_sub_nc_u32_e32 v13, 0x3f1, v10
	v_add_nc_u32_e32 v10, 0xfffffc10, v10
	v_cndmask_b32_e64 v5, 0, 1, vcc_lo
	v_cmp_ne_u32_e32 vcc_lo, 0, v7
	v_lshrrev_b32_e32 v8, 16, v8
	v_and_or_b32 v5, 0xffe, v9, v5
	v_cndmask_b32_e64 v7, 0, 1, vcc_lo
	v_sub_nc_u32_e32 v9, 0x3f1, v12
	v_add_nc_u32_e32 v12, 0xfffffc10, v12
	v_and_or_b32 v7, 0xffe, v11, v7
	v_med3_i32 v11, v13, 0, 13
	v_or_b32_e32 v13, 0x1000, v5
	v_med3_i32 v9, v9, 0, 13
	v_or_b32_e32 v14, 0x1000, v7
	v_lshrrev_b32_e32 v15, v11, v13
	v_lshrrev_b32_e32 v16, v9, v14
	v_lshlrev_b32_e32 v11, v11, v15
	v_lshlrev_b32_e32 v9, v9, v16
	v_cmp_ne_u32_e32 vcc_lo, v11, v13
	v_lshl_or_b32 v13, v10, 12, v5
	v_cndmask_b32_e64 v11, 0, 1, vcc_lo
	v_cmp_ne_u32_e32 vcc_lo, v9, v14
	v_lshl_or_b32 v14, v12, 12, v7
	v_or_b32_e32 v11, v15, v11
	v_cndmask_b32_e64 v9, 0, 1, vcc_lo
	v_cmp_gt_i32_e32 vcc_lo, 1, v10
	v_or_b32_e32 v9, v16, v9
	v_cndmask_b32_e32 v11, v13, v11, vcc_lo
	v_cmp_gt_i32_e32 vcc_lo, 1, v12
	v_and_b32_e32 v13, 7, v11
	v_cndmask_b32_e32 v9, v14, v9, vcc_lo
	v_cmp_ne_u32_e32 vcc_lo, 0, v5
	v_lshrrev_b32_e32 v11, 2, v11
	v_cmp_eq_u32_e64 s0, 3, v13
	v_and_b32_e32 v14, 7, v9
	v_cndmask_b32_e64 v5, 0, 1, vcc_lo
	v_cmp_ne_u32_e32 vcc_lo, 0, v7
	v_lshrrev_b32_e32 v9, 2, v9
	v_cmp_lt_i32_e64 s1, 5, v14
	v_cmp_eq_u32_e64 s2, 3, v14
	v_cndmask_b32_e64 v7, 0, 1, vcc_lo
	v_cmp_lt_i32_e32 vcc_lo, 5, v13
	v_lshl_or_b32 v5, v5, 9, 0x7c00
	v_lshl_or_b32 v7, v7, 9, 0x7c00
	s_or_b32 vcc_lo, s0, vcc_lo
	v_add_co_ci_u32_e32 v11, vcc_lo, 0, v11, vcc_lo
	s_or_b32 vcc_lo, s2, s1
	v_add_co_ci_u32_e32 v9, vcc_lo, 0, v9, vcc_lo
	v_cmp_gt_i32_e32 vcc_lo, 31, v10
	v_cndmask_b32_e32 v11, 0x7c00, v11, vcc_lo
	v_cmp_gt_i32_e32 vcc_lo, 31, v12
	v_cndmask_b32_e32 v9, 0x7c00, v9, vcc_lo
	v_cmp_eq_u32_e32 vcc_lo, 0x40f, v10
	v_cndmask_b32_e32 v5, v11, v5, vcc_lo
	v_cmp_eq_u32_e32 vcc_lo, 0x40f, v12
	v_and_or_b32 v5, 0x8000, v6, v5
	v_cndmask_b32_e32 v7, v9, v7, vcc_lo
	v_add_co_u32 v3, vcc_lo, v3, s6
	v_add_co_ci_u32_e32 v4, vcc_lo, s3, v4, vcc_lo
	v_and_or_b32 v6, 0x8000, v8, v7
	v_and_b32_e32 v5, 0xffff, v5
	v_lshl_or_b32 v5, v6, 16, v5
	global_store_dword v[3:4], v5, off
	global_load_dword v7, v40, s[12:13] offset:840
	ds_read2_b32 v[5:6], v44 offset0:210 offset1:240
	s_waitcnt lgkmcnt(0)
	v_lshrrev_b32_e32 v8, 16, v5
	s_waitcnt vmcnt(0)
	v_mul_f16_sdwa v9, v8, v7 dst_sel:DWORD dst_unused:UNUSED_PAD src0_sel:DWORD src1_sel:WORD_1
	v_mul_f16_sdwa v10, v5, v7 dst_sel:DWORD dst_unused:UNUSED_PAD src0_sel:DWORD src1_sel:WORD_1
	v_fmac_f16_e32 v9, v5, v7
	v_fma_f16 v5, v7, v8, -v10
	v_cvt_f32_f16_e32 v7, v9
	v_cvt_f32_f16_e32 v5, v5
	v_cvt_f64_f32_e32 v[7:8], v7
	v_cvt_f64_f32_e32 v[9:10], v5
	v_mul_f64 v[7:8], v[7:8], s[8:9]
	v_mul_f64 v[9:10], v[9:10], s[8:9]
	v_and_or_b32 v5, 0x1ff, v8, v7
	v_and_or_b32 v9, 0x1ff, v10, v9
	v_lshrrev_b32_e32 v7, 8, v8
	v_bfe_u32 v11, v8, 20, 11
	v_lshrrev_b32_e32 v12, 8, v10
	v_cmp_ne_u32_e32 vcc_lo, 0, v5
	v_bfe_u32 v13, v10, 20, 11
	v_lshrrev_b32_e32 v8, 16, v8
	v_sub_nc_u32_e32 v14, 0x3f1, v11
	v_add_nc_u32_e32 v11, 0xfffffc10, v11
	v_cndmask_b32_e64 v5, 0, 1, vcc_lo
	v_cmp_ne_u32_e32 vcc_lo, 0, v9
	v_lshrrev_b32_e32 v10, 16, v10
	v_and_or_b32 v5, 0xffe, v7, v5
	v_cndmask_b32_e64 v9, 0, 1, vcc_lo
	v_sub_nc_u32_e32 v7, 0x3f1, v13
	v_add_nc_u32_e32 v13, 0xfffffc10, v13
	v_and_or_b32 v9, 0xffe, v12, v9
	v_med3_i32 v12, v14, 0, 13
	v_or_b32_e32 v14, 0x1000, v5
	v_med3_i32 v7, v7, 0, 13
	v_or_b32_e32 v15, 0x1000, v9
	v_lshrrev_b32_e32 v16, v12, v14
	v_lshrrev_b32_e32 v17, v7, v15
	v_lshlrev_b32_e32 v12, v12, v16
	v_lshlrev_b32_e32 v7, v7, v17
	v_cmp_ne_u32_e32 vcc_lo, v12, v14
	v_lshl_or_b32 v14, v11, 12, v5
	v_cndmask_b32_e64 v12, 0, 1, vcc_lo
	v_cmp_ne_u32_e32 vcc_lo, v7, v15
	v_lshl_or_b32 v15, v13, 12, v9
	v_or_b32_e32 v12, v16, v12
	v_cndmask_b32_e64 v7, 0, 1, vcc_lo
	v_cmp_gt_i32_e32 vcc_lo, 1, v11
	v_or_b32_e32 v7, v17, v7
	v_cndmask_b32_e32 v12, v14, v12, vcc_lo
	v_cmp_gt_i32_e32 vcc_lo, 1, v13
	v_and_b32_e32 v14, 7, v12
	v_cndmask_b32_e32 v7, v15, v7, vcc_lo
	v_cmp_ne_u32_e32 vcc_lo, 0, v5
	v_lshrrev_b32_e32 v12, 2, v12
	v_cmp_eq_u32_e64 s0, 3, v14
	v_and_b32_e32 v15, 7, v7
	v_cndmask_b32_e64 v5, 0, 1, vcc_lo
	v_cmp_ne_u32_e32 vcc_lo, 0, v9
	v_lshrrev_b32_e32 v7, 2, v7
	v_cmp_lt_i32_e64 s1, 5, v15
	v_cmp_eq_u32_e64 s2, 3, v15
	v_cndmask_b32_e64 v9, 0, 1, vcc_lo
	v_cmp_lt_i32_e32 vcc_lo, 5, v14
	v_lshl_or_b32 v5, v5, 9, 0x7c00
	v_lshl_or_b32 v9, v9, 9, 0x7c00
	s_or_b32 vcc_lo, s0, vcc_lo
	v_add_co_ci_u32_e32 v12, vcc_lo, 0, v12, vcc_lo
	s_or_b32 vcc_lo, s2, s1
	v_add_co_ci_u32_e32 v7, vcc_lo, 0, v7, vcc_lo
	v_cmp_gt_i32_e32 vcc_lo, 31, v11
	v_cndmask_b32_e32 v12, 0x7c00, v12, vcc_lo
	v_cmp_gt_i32_e32 vcc_lo, 31, v13
	v_cndmask_b32_e32 v7, 0x7c00, v7, vcc_lo
	v_cmp_eq_u32_e32 vcc_lo, 0x40f, v11
	v_cndmask_b32_e32 v5, v12, v5, vcc_lo
	v_cmp_eq_u32_e32 vcc_lo, 0x40f, v13
	v_and_or_b32 v5, 0x8000, v8, v5
	v_cndmask_b32_e32 v7, v7, v9, vcc_lo
	v_add_co_u32 v3, vcc_lo, v3, s6
	v_add_co_ci_u32_e32 v4, vcc_lo, s3, v4, vcc_lo
	v_and_or_b32 v7, 0x8000, v10, v7
	v_and_b32_e32 v5, 0xffff, v5
	v_lshl_or_b32 v5, v7, 16, v5
	v_lshrrev_b32_e32 v7, 16, v6
	global_store_dword v[3:4], v5, off
	global_load_dword v5, v40, s[12:13] offset:960
	s_waitcnt vmcnt(0)
	v_mul_f16_sdwa v8, v7, v5 dst_sel:DWORD dst_unused:UNUSED_PAD src0_sel:DWORD src1_sel:WORD_1
	v_mul_f16_sdwa v9, v6, v5 dst_sel:DWORD dst_unused:UNUSED_PAD src0_sel:DWORD src1_sel:WORD_1
	v_fmac_f16_e32 v8, v6, v5
	v_fma_f16 v5, v5, v7, -v9
	v_cvt_f32_f16_e32 v6, v8
	v_cvt_f32_f16_e32 v7, v5
	v_cvt_f64_f32_e32 v[5:6], v6
	v_cvt_f64_f32_e32 v[7:8], v7
	v_mul_f64 v[5:6], v[5:6], s[8:9]
	v_mul_f64 v[7:8], v[7:8], s[8:9]
	v_and_or_b32 v5, 0x1ff, v6, v5
	v_and_or_b32 v7, 0x1ff, v8, v7
	v_lshrrev_b32_e32 v9, 8, v6
	v_bfe_u32 v10, v6, 20, 11
	v_lshrrev_b32_e32 v11, 8, v8
	v_cmp_ne_u32_e32 vcc_lo, 0, v5
	v_bfe_u32 v12, v8, 20, 11
	v_lshrrev_b32_e32 v6, 16, v6
	v_sub_nc_u32_e32 v13, 0x3f1, v10
	v_add_nc_u32_e32 v10, 0xfffffc10, v10
	v_cndmask_b32_e64 v5, 0, 1, vcc_lo
	v_cmp_ne_u32_e32 vcc_lo, 0, v7
	v_lshrrev_b32_e32 v8, 16, v8
	v_and_or_b32 v5, 0xffe, v9, v5
	v_cndmask_b32_e64 v7, 0, 1, vcc_lo
	v_sub_nc_u32_e32 v9, 0x3f1, v12
	v_add_nc_u32_e32 v12, 0xfffffc10, v12
	v_and_or_b32 v7, 0xffe, v11, v7
	v_med3_i32 v11, v13, 0, 13
	v_or_b32_e32 v13, 0x1000, v5
	v_med3_i32 v9, v9, 0, 13
	v_or_b32_e32 v14, 0x1000, v7
	v_lshrrev_b32_e32 v15, v11, v13
	v_lshrrev_b32_e32 v16, v9, v14
	v_lshlrev_b32_e32 v11, v11, v15
	v_lshlrev_b32_e32 v9, v9, v16
	v_cmp_ne_u32_e32 vcc_lo, v11, v13
	v_lshl_or_b32 v13, v10, 12, v5
	v_cndmask_b32_e64 v11, 0, 1, vcc_lo
	v_cmp_ne_u32_e32 vcc_lo, v9, v14
	v_lshl_or_b32 v14, v12, 12, v7
	v_or_b32_e32 v11, v15, v11
	v_cndmask_b32_e64 v9, 0, 1, vcc_lo
	v_cmp_gt_i32_e32 vcc_lo, 1, v10
	v_or_b32_e32 v9, v16, v9
	v_cndmask_b32_e32 v11, v13, v11, vcc_lo
	v_cmp_gt_i32_e32 vcc_lo, 1, v12
	v_and_b32_e32 v13, 7, v11
	v_cndmask_b32_e32 v9, v14, v9, vcc_lo
	v_cmp_ne_u32_e32 vcc_lo, 0, v5
	v_lshrrev_b32_e32 v11, 2, v11
	v_cmp_eq_u32_e64 s0, 3, v13
	v_and_b32_e32 v14, 7, v9
	v_cndmask_b32_e64 v5, 0, 1, vcc_lo
	v_cmp_ne_u32_e32 vcc_lo, 0, v7
	v_lshrrev_b32_e32 v9, 2, v9
	v_cmp_lt_i32_e64 s1, 5, v14
	v_cmp_eq_u32_e64 s2, 3, v14
	v_cndmask_b32_e64 v7, 0, 1, vcc_lo
	v_cmp_lt_i32_e32 vcc_lo, 5, v13
	v_lshl_or_b32 v5, v5, 9, 0x7c00
	v_lshl_or_b32 v7, v7, 9, 0x7c00
	s_or_b32 vcc_lo, s0, vcc_lo
	v_add_co_ci_u32_e32 v11, vcc_lo, 0, v11, vcc_lo
	s_or_b32 vcc_lo, s2, s1
	v_add_co_ci_u32_e32 v9, vcc_lo, 0, v9, vcc_lo
	v_cmp_gt_i32_e32 vcc_lo, 31, v10
	v_cndmask_b32_e32 v11, 0x7c00, v11, vcc_lo
	v_cmp_gt_i32_e32 vcc_lo, 31, v12
	v_cndmask_b32_e32 v9, 0x7c00, v9, vcc_lo
	v_cmp_eq_u32_e32 vcc_lo, 0x40f, v10
	v_cndmask_b32_e32 v5, v11, v5, vcc_lo
	v_cmp_eq_u32_e32 vcc_lo, 0x40f, v12
	v_and_or_b32 v5, 0x8000, v6, v5
	v_cndmask_b32_e32 v7, v9, v7, vcc_lo
	v_add_co_u32 v3, vcc_lo, v3, s6
	v_add_co_ci_u32_e32 v4, vcc_lo, s3, v4, vcc_lo
	v_and_or_b32 v6, 0x8000, v8, v7
	v_and_b32_e32 v5, 0xffff, v5
	v_lshl_or_b32 v5, v6, 16, v5
	global_store_dword v[3:4], v5, off
	global_load_dword v7, v40, s[12:13] offset:1080
	ds_read2_b32 v[5:6], v2 offset0:14 offset1:44
	s_waitcnt lgkmcnt(0)
	v_lshrrev_b32_e32 v8, 16, v5
	s_waitcnt vmcnt(0)
	v_mul_f16_sdwa v9, v8, v7 dst_sel:DWORD dst_unused:UNUSED_PAD src0_sel:DWORD src1_sel:WORD_1
	v_mul_f16_sdwa v10, v5, v7 dst_sel:DWORD dst_unused:UNUSED_PAD src0_sel:DWORD src1_sel:WORD_1
	v_fmac_f16_e32 v9, v5, v7
	v_fma_f16 v5, v7, v8, -v10
	v_cvt_f32_f16_e32 v7, v9
	v_cvt_f32_f16_e32 v5, v5
	v_cvt_f64_f32_e32 v[7:8], v7
	v_cvt_f64_f32_e32 v[9:10], v5
	v_mul_f64 v[7:8], v[7:8], s[8:9]
	v_mul_f64 v[9:10], v[9:10], s[8:9]
	v_and_or_b32 v5, 0x1ff, v8, v7
	v_and_or_b32 v9, 0x1ff, v10, v9
	v_lshrrev_b32_e32 v7, 8, v8
	v_bfe_u32 v11, v8, 20, 11
	v_lshrrev_b32_e32 v12, 8, v10
	v_cmp_ne_u32_e32 vcc_lo, 0, v5
	v_bfe_u32 v13, v10, 20, 11
	v_lshrrev_b32_e32 v8, 16, v8
	v_sub_nc_u32_e32 v14, 0x3f1, v11
	v_add_nc_u32_e32 v11, 0xfffffc10, v11
	v_cndmask_b32_e64 v5, 0, 1, vcc_lo
	v_cmp_ne_u32_e32 vcc_lo, 0, v9
	v_lshrrev_b32_e32 v10, 16, v10
	v_and_or_b32 v5, 0xffe, v7, v5
	v_cndmask_b32_e64 v9, 0, 1, vcc_lo
	v_sub_nc_u32_e32 v7, 0x3f1, v13
	v_add_nc_u32_e32 v13, 0xfffffc10, v13
	v_and_or_b32 v9, 0xffe, v12, v9
	v_med3_i32 v12, v14, 0, 13
	v_or_b32_e32 v14, 0x1000, v5
	v_med3_i32 v7, v7, 0, 13
	v_or_b32_e32 v15, 0x1000, v9
	v_lshrrev_b32_e32 v16, v12, v14
	v_lshrrev_b32_e32 v17, v7, v15
	v_lshlrev_b32_e32 v12, v12, v16
	v_lshlrev_b32_e32 v7, v7, v17
	v_cmp_ne_u32_e32 vcc_lo, v12, v14
	v_lshl_or_b32 v14, v11, 12, v5
	v_cndmask_b32_e64 v12, 0, 1, vcc_lo
	v_cmp_ne_u32_e32 vcc_lo, v7, v15
	v_lshl_or_b32 v15, v13, 12, v9
	v_or_b32_e32 v12, v16, v12
	v_cndmask_b32_e64 v7, 0, 1, vcc_lo
	v_cmp_gt_i32_e32 vcc_lo, 1, v11
	v_or_b32_e32 v7, v17, v7
	v_cndmask_b32_e32 v12, v14, v12, vcc_lo
	v_cmp_gt_i32_e32 vcc_lo, 1, v13
	v_and_b32_e32 v14, 7, v12
	v_cndmask_b32_e32 v7, v15, v7, vcc_lo
	v_cmp_ne_u32_e32 vcc_lo, 0, v5
	v_lshrrev_b32_e32 v12, 2, v12
	v_cmp_eq_u32_e64 s0, 3, v14
	v_and_b32_e32 v15, 7, v7
	v_cndmask_b32_e64 v5, 0, 1, vcc_lo
	v_cmp_ne_u32_e32 vcc_lo, 0, v9
	v_lshrrev_b32_e32 v7, 2, v7
	v_cmp_lt_i32_e64 s1, 5, v15
	v_cmp_eq_u32_e64 s2, 3, v15
	v_cndmask_b32_e64 v9, 0, 1, vcc_lo
	v_cmp_lt_i32_e32 vcc_lo, 5, v14
	v_lshl_or_b32 v5, v5, 9, 0x7c00
	v_lshl_or_b32 v9, v9, 9, 0x7c00
	s_or_b32 vcc_lo, s0, vcc_lo
	v_add_co_ci_u32_e32 v12, vcc_lo, 0, v12, vcc_lo
	s_or_b32 vcc_lo, s2, s1
	v_add_co_ci_u32_e32 v7, vcc_lo, 0, v7, vcc_lo
	v_cmp_gt_i32_e32 vcc_lo, 31, v11
	v_cndmask_b32_e32 v12, 0x7c00, v12, vcc_lo
	v_cmp_gt_i32_e32 vcc_lo, 31, v13
	v_cndmask_b32_e32 v7, 0x7c00, v7, vcc_lo
	v_cmp_eq_u32_e32 vcc_lo, 0x40f, v11
	v_cndmask_b32_e32 v5, v12, v5, vcc_lo
	v_cmp_eq_u32_e32 vcc_lo, 0x40f, v13
	v_and_or_b32 v5, 0x8000, v8, v5
	v_cndmask_b32_e32 v7, v7, v9, vcc_lo
	v_add_co_u32 v3, vcc_lo, v3, s6
	v_add_co_ci_u32_e32 v4, vcc_lo, s3, v4, vcc_lo
	v_and_or_b32 v7, 0x8000, v10, v7
	v_and_b32_e32 v5, 0xffff, v5
	v_lshl_or_b32 v5, v7, 16, v5
	v_lshrrev_b32_e32 v7, 16, v6
	global_store_dword v[3:4], v5, off
	global_load_dword v5, v40, s[12:13] offset:1200
	s_waitcnt vmcnt(0)
	v_mul_f16_sdwa v8, v7, v5 dst_sel:DWORD dst_unused:UNUSED_PAD src0_sel:DWORD src1_sel:WORD_1
	v_mul_f16_sdwa v9, v6, v5 dst_sel:DWORD dst_unused:UNUSED_PAD src0_sel:DWORD src1_sel:WORD_1
	v_fmac_f16_e32 v8, v6, v5
	v_fma_f16 v5, v5, v7, -v9
	v_cvt_f32_f16_e32 v6, v8
	v_cvt_f32_f16_e32 v7, v5
	v_cvt_f64_f32_e32 v[5:6], v6
	v_cvt_f64_f32_e32 v[7:8], v7
	v_mul_f64 v[5:6], v[5:6], s[8:9]
	v_mul_f64 v[7:8], v[7:8], s[8:9]
	v_and_or_b32 v5, 0x1ff, v6, v5
	v_and_or_b32 v7, 0x1ff, v8, v7
	v_lshrrev_b32_e32 v9, 8, v6
	v_bfe_u32 v10, v6, 20, 11
	v_lshrrev_b32_e32 v11, 8, v8
	v_cmp_ne_u32_e32 vcc_lo, 0, v5
	v_bfe_u32 v12, v8, 20, 11
	v_lshrrev_b32_e32 v6, 16, v6
	v_sub_nc_u32_e32 v13, 0x3f1, v10
	v_add_nc_u32_e32 v10, 0xfffffc10, v10
	v_cndmask_b32_e64 v5, 0, 1, vcc_lo
	v_cmp_ne_u32_e32 vcc_lo, 0, v7
	v_lshrrev_b32_e32 v8, 16, v8
	v_and_or_b32 v5, 0xffe, v9, v5
	v_cndmask_b32_e64 v7, 0, 1, vcc_lo
	v_sub_nc_u32_e32 v9, 0x3f1, v12
	v_add_nc_u32_e32 v12, 0xfffffc10, v12
	v_and_or_b32 v7, 0xffe, v11, v7
	v_med3_i32 v11, v13, 0, 13
	v_or_b32_e32 v13, 0x1000, v5
	v_med3_i32 v9, v9, 0, 13
	v_or_b32_e32 v14, 0x1000, v7
	v_lshrrev_b32_e32 v15, v11, v13
	v_lshrrev_b32_e32 v16, v9, v14
	v_lshlrev_b32_e32 v11, v11, v15
	v_lshlrev_b32_e32 v9, v9, v16
	v_cmp_ne_u32_e32 vcc_lo, v11, v13
	v_lshl_or_b32 v13, v10, 12, v5
	v_cndmask_b32_e64 v11, 0, 1, vcc_lo
	v_cmp_ne_u32_e32 vcc_lo, v9, v14
	v_lshl_or_b32 v14, v12, 12, v7
	v_or_b32_e32 v11, v15, v11
	v_cndmask_b32_e64 v9, 0, 1, vcc_lo
	v_cmp_gt_i32_e32 vcc_lo, 1, v10
	v_or_b32_e32 v9, v16, v9
	v_cndmask_b32_e32 v11, v13, v11, vcc_lo
	v_cmp_gt_i32_e32 vcc_lo, 1, v12
	v_and_b32_e32 v13, 7, v11
	v_cndmask_b32_e32 v9, v14, v9, vcc_lo
	v_cmp_ne_u32_e32 vcc_lo, 0, v5
	v_lshrrev_b32_e32 v11, 2, v11
	v_cmp_eq_u32_e64 s0, 3, v13
	v_and_b32_e32 v14, 7, v9
	v_cndmask_b32_e64 v5, 0, 1, vcc_lo
	v_cmp_ne_u32_e32 vcc_lo, 0, v7
	v_lshrrev_b32_e32 v9, 2, v9
	v_cmp_lt_i32_e64 s1, 5, v14
	v_cmp_eq_u32_e64 s2, 3, v14
	v_cndmask_b32_e64 v7, 0, 1, vcc_lo
	v_cmp_lt_i32_e32 vcc_lo, 5, v13
	v_lshl_or_b32 v5, v5, 9, 0x7c00
	v_lshl_or_b32 v7, v7, 9, 0x7c00
	s_or_b32 vcc_lo, s0, vcc_lo
	v_add_co_ci_u32_e32 v11, vcc_lo, 0, v11, vcc_lo
	s_or_b32 vcc_lo, s2, s1
	v_add_co_ci_u32_e32 v9, vcc_lo, 0, v9, vcc_lo
	v_cmp_gt_i32_e32 vcc_lo, 31, v10
	v_cndmask_b32_e32 v11, 0x7c00, v11, vcc_lo
	v_cmp_gt_i32_e32 vcc_lo, 31, v12
	v_cndmask_b32_e32 v9, 0x7c00, v9, vcc_lo
	v_cmp_eq_u32_e32 vcc_lo, 0x40f, v10
	v_cndmask_b32_e32 v5, v11, v5, vcc_lo
	v_cmp_eq_u32_e32 vcc_lo, 0x40f, v12
	v_and_or_b32 v5, 0x8000, v6, v5
	v_cndmask_b32_e32 v7, v9, v7, vcc_lo
	v_add_co_u32 v3, vcc_lo, v3, s6
	v_add_co_ci_u32_e32 v4, vcc_lo, s3, v4, vcc_lo
	v_and_or_b32 v6, 0x8000, v8, v7
	v_and_b32_e32 v5, 0xffff, v5
	v_lshl_or_b32 v5, v6, 16, v5
	global_store_dword v[3:4], v5, off
	global_load_dword v7, v40, s[12:13] offset:1320
	ds_read2_b32 v[5:6], v2 offset0:74 offset1:104
	s_waitcnt lgkmcnt(0)
	v_lshrrev_b32_e32 v8, 16, v5
	s_waitcnt vmcnt(0)
	v_mul_f16_sdwa v9, v8, v7 dst_sel:DWORD dst_unused:UNUSED_PAD src0_sel:DWORD src1_sel:WORD_1
	v_mul_f16_sdwa v10, v5, v7 dst_sel:DWORD dst_unused:UNUSED_PAD src0_sel:DWORD src1_sel:WORD_1
	v_fmac_f16_e32 v9, v5, v7
	v_fma_f16 v5, v7, v8, -v10
	v_cvt_f32_f16_e32 v7, v9
	v_cvt_f32_f16_e32 v5, v5
	v_cvt_f64_f32_e32 v[7:8], v7
	v_cvt_f64_f32_e32 v[9:10], v5
	v_mul_f64 v[7:8], v[7:8], s[8:9]
	v_mul_f64 v[9:10], v[9:10], s[8:9]
	v_and_or_b32 v5, 0x1ff, v8, v7
	v_and_or_b32 v9, 0x1ff, v10, v9
	v_lshrrev_b32_e32 v7, 8, v8
	v_bfe_u32 v11, v8, 20, 11
	v_lshrrev_b32_e32 v12, 8, v10
	v_cmp_ne_u32_e32 vcc_lo, 0, v5
	v_bfe_u32 v13, v10, 20, 11
	v_lshrrev_b32_e32 v8, 16, v8
	v_sub_nc_u32_e32 v14, 0x3f1, v11
	v_add_nc_u32_e32 v11, 0xfffffc10, v11
	v_cndmask_b32_e64 v5, 0, 1, vcc_lo
	v_cmp_ne_u32_e32 vcc_lo, 0, v9
	v_lshrrev_b32_e32 v10, 16, v10
	v_and_or_b32 v5, 0xffe, v7, v5
	v_cndmask_b32_e64 v9, 0, 1, vcc_lo
	v_sub_nc_u32_e32 v7, 0x3f1, v13
	v_add_nc_u32_e32 v13, 0xfffffc10, v13
	v_and_or_b32 v9, 0xffe, v12, v9
	v_med3_i32 v12, v14, 0, 13
	v_or_b32_e32 v14, 0x1000, v5
	v_med3_i32 v7, v7, 0, 13
	v_or_b32_e32 v15, 0x1000, v9
	v_lshrrev_b32_e32 v16, v12, v14
	v_lshrrev_b32_e32 v17, v7, v15
	v_lshlrev_b32_e32 v12, v12, v16
	v_lshlrev_b32_e32 v7, v7, v17
	v_cmp_ne_u32_e32 vcc_lo, v12, v14
	v_lshl_or_b32 v14, v11, 12, v5
	v_cndmask_b32_e64 v12, 0, 1, vcc_lo
	v_cmp_ne_u32_e32 vcc_lo, v7, v15
	v_lshl_or_b32 v15, v13, 12, v9
	v_or_b32_e32 v12, v16, v12
	v_cndmask_b32_e64 v7, 0, 1, vcc_lo
	v_cmp_gt_i32_e32 vcc_lo, 1, v11
	v_or_b32_e32 v7, v17, v7
	v_cndmask_b32_e32 v12, v14, v12, vcc_lo
	v_cmp_gt_i32_e32 vcc_lo, 1, v13
	v_and_b32_e32 v14, 7, v12
	v_cndmask_b32_e32 v7, v15, v7, vcc_lo
	v_cmp_ne_u32_e32 vcc_lo, 0, v5
	v_lshrrev_b32_e32 v12, 2, v12
	v_cmp_eq_u32_e64 s0, 3, v14
	v_and_b32_e32 v15, 7, v7
	v_cndmask_b32_e64 v5, 0, 1, vcc_lo
	v_cmp_ne_u32_e32 vcc_lo, 0, v9
	v_lshrrev_b32_e32 v7, 2, v7
	v_cmp_lt_i32_e64 s1, 5, v15
	v_cmp_eq_u32_e64 s2, 3, v15
	v_cndmask_b32_e64 v9, 0, 1, vcc_lo
	v_cmp_lt_i32_e32 vcc_lo, 5, v14
	v_lshl_or_b32 v5, v5, 9, 0x7c00
	v_lshl_or_b32 v9, v9, 9, 0x7c00
	s_or_b32 vcc_lo, s0, vcc_lo
	v_add_co_ci_u32_e32 v12, vcc_lo, 0, v12, vcc_lo
	s_or_b32 vcc_lo, s2, s1
	v_add_co_ci_u32_e32 v7, vcc_lo, 0, v7, vcc_lo
	v_cmp_gt_i32_e32 vcc_lo, 31, v11
	v_cndmask_b32_e32 v12, 0x7c00, v12, vcc_lo
	v_cmp_gt_i32_e32 vcc_lo, 31, v13
	v_cndmask_b32_e32 v7, 0x7c00, v7, vcc_lo
	v_cmp_eq_u32_e32 vcc_lo, 0x40f, v11
	v_cndmask_b32_e32 v5, v12, v5, vcc_lo
	v_cmp_eq_u32_e32 vcc_lo, 0x40f, v13
	v_and_or_b32 v5, 0x8000, v8, v5
	v_cndmask_b32_e32 v7, v7, v9, vcc_lo
	v_add_co_u32 v3, vcc_lo, v3, s6
	v_add_co_ci_u32_e32 v4, vcc_lo, s3, v4, vcc_lo
	v_and_or_b32 v7, 0x8000, v10, v7
	v_and_b32_e32 v5, 0xffff, v5
	v_lshl_or_b32 v5, v7, 16, v5
	v_lshrrev_b32_e32 v7, 16, v6
	global_store_dword v[3:4], v5, off
	global_load_dword v5, v40, s[12:13] offset:1440
	s_waitcnt vmcnt(0)
	v_mul_f16_sdwa v8, v7, v5 dst_sel:DWORD dst_unused:UNUSED_PAD src0_sel:DWORD src1_sel:WORD_1
	v_mul_f16_sdwa v9, v6, v5 dst_sel:DWORD dst_unused:UNUSED_PAD src0_sel:DWORD src1_sel:WORD_1
	v_fmac_f16_e32 v8, v6, v5
	v_fma_f16 v5, v5, v7, -v9
	v_cvt_f32_f16_e32 v6, v8
	v_cvt_f32_f16_e32 v7, v5
	v_cvt_f64_f32_e32 v[5:6], v6
	v_cvt_f64_f32_e32 v[7:8], v7
	v_mul_f64 v[5:6], v[5:6], s[8:9]
	v_mul_f64 v[7:8], v[7:8], s[8:9]
	v_and_or_b32 v5, 0x1ff, v6, v5
	v_and_or_b32 v7, 0x1ff, v8, v7
	v_lshrrev_b32_e32 v9, 8, v6
	v_bfe_u32 v10, v6, 20, 11
	v_lshrrev_b32_e32 v11, 8, v8
	v_cmp_ne_u32_e32 vcc_lo, 0, v5
	v_bfe_u32 v12, v8, 20, 11
	v_lshrrev_b32_e32 v6, 16, v6
	v_sub_nc_u32_e32 v13, 0x3f1, v10
	v_add_nc_u32_e32 v10, 0xfffffc10, v10
	v_cndmask_b32_e64 v5, 0, 1, vcc_lo
	v_cmp_ne_u32_e32 vcc_lo, 0, v7
	v_lshrrev_b32_e32 v8, 16, v8
	v_and_or_b32 v5, 0xffe, v9, v5
	v_cndmask_b32_e64 v7, 0, 1, vcc_lo
	v_sub_nc_u32_e32 v9, 0x3f1, v12
	v_add_nc_u32_e32 v12, 0xfffffc10, v12
	v_and_or_b32 v7, 0xffe, v11, v7
	v_med3_i32 v11, v13, 0, 13
	v_or_b32_e32 v13, 0x1000, v5
	v_med3_i32 v9, v9, 0, 13
	v_or_b32_e32 v14, 0x1000, v7
	v_lshrrev_b32_e32 v15, v11, v13
	v_lshrrev_b32_e32 v16, v9, v14
	v_lshlrev_b32_e32 v11, v11, v15
	v_lshlrev_b32_e32 v9, v9, v16
	v_cmp_ne_u32_e32 vcc_lo, v11, v13
	v_lshl_or_b32 v13, v10, 12, v5
	v_cndmask_b32_e64 v11, 0, 1, vcc_lo
	v_cmp_ne_u32_e32 vcc_lo, v9, v14
	v_lshl_or_b32 v14, v12, 12, v7
	v_or_b32_e32 v11, v15, v11
	v_cndmask_b32_e64 v9, 0, 1, vcc_lo
	v_cmp_gt_i32_e32 vcc_lo, 1, v10
	v_or_b32_e32 v9, v16, v9
	v_cndmask_b32_e32 v11, v13, v11, vcc_lo
	v_cmp_gt_i32_e32 vcc_lo, 1, v12
	v_and_b32_e32 v13, 7, v11
	v_cndmask_b32_e32 v9, v14, v9, vcc_lo
	v_cmp_ne_u32_e32 vcc_lo, 0, v5
	v_lshrrev_b32_e32 v11, 2, v11
	v_cmp_eq_u32_e64 s0, 3, v13
	v_and_b32_e32 v14, 7, v9
	v_cndmask_b32_e64 v5, 0, 1, vcc_lo
	v_cmp_ne_u32_e32 vcc_lo, 0, v7
	v_lshrrev_b32_e32 v9, 2, v9
	v_cmp_lt_i32_e64 s1, 5, v14
	v_cmp_eq_u32_e64 s2, 3, v14
	v_cndmask_b32_e64 v7, 0, 1, vcc_lo
	v_cmp_lt_i32_e32 vcc_lo, 5, v13
	v_lshl_or_b32 v5, v5, 9, 0x7c00
	v_lshl_or_b32 v7, v7, 9, 0x7c00
	s_or_b32 vcc_lo, s0, vcc_lo
	v_add_co_ci_u32_e32 v11, vcc_lo, 0, v11, vcc_lo
	s_or_b32 vcc_lo, s2, s1
	v_add_co_ci_u32_e32 v9, vcc_lo, 0, v9, vcc_lo
	v_cmp_gt_i32_e32 vcc_lo, 31, v10
	v_cndmask_b32_e32 v11, 0x7c00, v11, vcc_lo
	v_cmp_gt_i32_e32 vcc_lo, 31, v12
	v_cndmask_b32_e32 v9, 0x7c00, v9, vcc_lo
	v_cmp_eq_u32_e32 vcc_lo, 0x40f, v10
	v_cndmask_b32_e32 v5, v11, v5, vcc_lo
	v_cmp_eq_u32_e32 vcc_lo, 0x40f, v12
	v_and_or_b32 v5, 0x8000, v6, v5
	v_cndmask_b32_e32 v7, v9, v7, vcc_lo
	v_add_co_u32 v3, vcc_lo, v3, s6
	v_add_co_ci_u32_e32 v4, vcc_lo, s3, v4, vcc_lo
	v_and_or_b32 v6, 0x8000, v8, v7
	v_and_b32_e32 v5, 0xffff, v5
	v_lshl_or_b32 v5, v6, 16, v5
	global_store_dword v[3:4], v5, off
	global_load_dword v7, v40, s[12:13] offset:1560
	ds_read2_b32 v[5:6], v2 offset0:134 offset1:164
	s_waitcnt lgkmcnt(0)
	v_lshrrev_b32_e32 v8, 16, v5
	s_waitcnt vmcnt(0)
	v_mul_f16_sdwa v9, v8, v7 dst_sel:DWORD dst_unused:UNUSED_PAD src0_sel:DWORD src1_sel:WORD_1
	v_mul_f16_sdwa v10, v5, v7 dst_sel:DWORD dst_unused:UNUSED_PAD src0_sel:DWORD src1_sel:WORD_1
	v_fmac_f16_e32 v9, v5, v7
	v_fma_f16 v5, v7, v8, -v10
	v_cvt_f32_f16_e32 v7, v9
	v_cvt_f32_f16_e32 v5, v5
	v_cvt_f64_f32_e32 v[7:8], v7
	v_cvt_f64_f32_e32 v[9:10], v5
	v_mul_f64 v[7:8], v[7:8], s[8:9]
	v_mul_f64 v[9:10], v[9:10], s[8:9]
	v_and_or_b32 v5, 0x1ff, v8, v7
	v_and_or_b32 v9, 0x1ff, v10, v9
	v_lshrrev_b32_e32 v7, 8, v8
	v_bfe_u32 v11, v8, 20, 11
	v_lshrrev_b32_e32 v12, 8, v10
	v_cmp_ne_u32_e32 vcc_lo, 0, v5
	v_bfe_u32 v13, v10, 20, 11
	v_lshrrev_b32_e32 v8, 16, v8
	v_sub_nc_u32_e32 v14, 0x3f1, v11
	v_add_nc_u32_e32 v11, 0xfffffc10, v11
	v_cndmask_b32_e64 v5, 0, 1, vcc_lo
	v_cmp_ne_u32_e32 vcc_lo, 0, v9
	v_lshrrev_b32_e32 v10, 16, v10
	v_and_or_b32 v5, 0xffe, v7, v5
	v_cndmask_b32_e64 v9, 0, 1, vcc_lo
	v_sub_nc_u32_e32 v7, 0x3f1, v13
	v_add_nc_u32_e32 v13, 0xfffffc10, v13
	v_and_or_b32 v9, 0xffe, v12, v9
	v_med3_i32 v12, v14, 0, 13
	v_or_b32_e32 v14, 0x1000, v5
	v_med3_i32 v7, v7, 0, 13
	v_or_b32_e32 v15, 0x1000, v9
	v_lshrrev_b32_e32 v16, v12, v14
	v_lshrrev_b32_e32 v17, v7, v15
	v_lshlrev_b32_e32 v12, v12, v16
	v_lshlrev_b32_e32 v7, v7, v17
	v_cmp_ne_u32_e32 vcc_lo, v12, v14
	v_lshl_or_b32 v14, v11, 12, v5
	v_cndmask_b32_e64 v12, 0, 1, vcc_lo
	v_cmp_ne_u32_e32 vcc_lo, v7, v15
	v_lshl_or_b32 v15, v13, 12, v9
	v_or_b32_e32 v12, v16, v12
	v_cndmask_b32_e64 v7, 0, 1, vcc_lo
	v_cmp_gt_i32_e32 vcc_lo, 1, v11
	v_or_b32_e32 v7, v17, v7
	v_cndmask_b32_e32 v12, v14, v12, vcc_lo
	v_cmp_gt_i32_e32 vcc_lo, 1, v13
	v_and_b32_e32 v14, 7, v12
	v_cndmask_b32_e32 v7, v15, v7, vcc_lo
	v_cmp_ne_u32_e32 vcc_lo, 0, v5
	v_lshrrev_b32_e32 v12, 2, v12
	v_cmp_eq_u32_e64 s0, 3, v14
	v_and_b32_e32 v15, 7, v7
	v_cndmask_b32_e64 v5, 0, 1, vcc_lo
	v_cmp_ne_u32_e32 vcc_lo, 0, v9
	v_lshrrev_b32_e32 v7, 2, v7
	v_cmp_lt_i32_e64 s1, 5, v15
	v_cmp_eq_u32_e64 s2, 3, v15
	v_cndmask_b32_e64 v9, 0, 1, vcc_lo
	v_cmp_lt_i32_e32 vcc_lo, 5, v14
	v_lshl_or_b32 v5, v5, 9, 0x7c00
	v_lshl_or_b32 v9, v9, 9, 0x7c00
	s_or_b32 vcc_lo, s0, vcc_lo
	v_add_co_ci_u32_e32 v12, vcc_lo, 0, v12, vcc_lo
	s_or_b32 vcc_lo, s2, s1
	v_add_co_ci_u32_e32 v7, vcc_lo, 0, v7, vcc_lo
	v_cmp_gt_i32_e32 vcc_lo, 31, v11
	v_cndmask_b32_e32 v12, 0x7c00, v12, vcc_lo
	v_cmp_gt_i32_e32 vcc_lo, 31, v13
	v_cndmask_b32_e32 v7, 0x7c00, v7, vcc_lo
	v_cmp_eq_u32_e32 vcc_lo, 0x40f, v11
	v_cndmask_b32_e32 v5, v12, v5, vcc_lo
	v_cmp_eq_u32_e32 vcc_lo, 0x40f, v13
	v_and_or_b32 v5, 0x8000, v8, v5
	v_cndmask_b32_e32 v7, v7, v9, vcc_lo
	v_add_co_u32 v3, vcc_lo, v3, s6
	v_add_co_ci_u32_e32 v4, vcc_lo, s3, v4, vcc_lo
	v_and_or_b32 v7, 0x8000, v10, v7
	v_and_b32_e32 v5, 0xffff, v5
	v_lshl_or_b32 v5, v7, 16, v5
	v_lshrrev_b32_e32 v7, 16, v6
	global_store_dword v[3:4], v5, off
	global_load_dword v5, v40, s[12:13] offset:1680
	s_waitcnt vmcnt(0)
	v_mul_f16_sdwa v8, v7, v5 dst_sel:DWORD dst_unused:UNUSED_PAD src0_sel:DWORD src1_sel:WORD_1
	v_mul_f16_sdwa v9, v6, v5 dst_sel:DWORD dst_unused:UNUSED_PAD src0_sel:DWORD src1_sel:WORD_1
	v_fmac_f16_e32 v8, v6, v5
	v_fma_f16 v5, v5, v7, -v9
	v_cvt_f32_f16_e32 v6, v8
	v_cvt_f32_f16_e32 v7, v5
	v_cvt_f64_f32_e32 v[5:6], v6
	v_cvt_f64_f32_e32 v[7:8], v7
	v_mul_f64 v[5:6], v[5:6], s[8:9]
	v_mul_f64 v[7:8], v[7:8], s[8:9]
	v_and_or_b32 v5, 0x1ff, v6, v5
	v_and_or_b32 v7, 0x1ff, v8, v7
	v_lshrrev_b32_e32 v9, 8, v6
	v_bfe_u32 v10, v6, 20, 11
	v_lshrrev_b32_e32 v11, 8, v8
	v_cmp_ne_u32_e32 vcc_lo, 0, v5
	v_bfe_u32 v12, v8, 20, 11
	v_lshrrev_b32_e32 v6, 16, v6
	v_sub_nc_u32_e32 v13, 0x3f1, v10
	v_add_nc_u32_e32 v10, 0xfffffc10, v10
	v_cndmask_b32_e64 v5, 0, 1, vcc_lo
	v_cmp_ne_u32_e32 vcc_lo, 0, v7
	v_lshrrev_b32_e32 v8, 16, v8
	v_and_or_b32 v5, 0xffe, v9, v5
	v_cndmask_b32_e64 v7, 0, 1, vcc_lo
	v_sub_nc_u32_e32 v9, 0x3f1, v12
	v_add_nc_u32_e32 v12, 0xfffffc10, v12
	v_and_or_b32 v7, 0xffe, v11, v7
	v_med3_i32 v11, v13, 0, 13
	v_or_b32_e32 v13, 0x1000, v5
	v_med3_i32 v9, v9, 0, 13
	v_or_b32_e32 v14, 0x1000, v7
	v_lshrrev_b32_e32 v15, v11, v13
	v_lshrrev_b32_e32 v16, v9, v14
	v_lshlrev_b32_e32 v11, v11, v15
	v_lshlrev_b32_e32 v9, v9, v16
	v_cmp_ne_u32_e32 vcc_lo, v11, v13
	v_lshl_or_b32 v13, v10, 12, v5
	v_cndmask_b32_e64 v11, 0, 1, vcc_lo
	v_cmp_ne_u32_e32 vcc_lo, v9, v14
	v_lshl_or_b32 v14, v12, 12, v7
	v_or_b32_e32 v11, v15, v11
	v_cndmask_b32_e64 v9, 0, 1, vcc_lo
	v_cmp_gt_i32_e32 vcc_lo, 1, v10
	v_or_b32_e32 v9, v16, v9
	v_cndmask_b32_e32 v11, v13, v11, vcc_lo
	v_cmp_gt_i32_e32 vcc_lo, 1, v12
	v_and_b32_e32 v13, 7, v11
	v_cndmask_b32_e32 v9, v14, v9, vcc_lo
	v_cmp_ne_u32_e32 vcc_lo, 0, v5
	v_lshrrev_b32_e32 v11, 2, v11
	v_cmp_eq_u32_e64 s0, 3, v13
	v_and_b32_e32 v14, 7, v9
	v_cndmask_b32_e64 v5, 0, 1, vcc_lo
	v_cmp_ne_u32_e32 vcc_lo, 0, v7
	v_lshrrev_b32_e32 v9, 2, v9
	v_cmp_lt_i32_e64 s1, 5, v14
	v_cmp_eq_u32_e64 s2, 3, v14
	v_cndmask_b32_e64 v7, 0, 1, vcc_lo
	v_cmp_lt_i32_e32 vcc_lo, 5, v13
	v_lshl_or_b32 v5, v5, 9, 0x7c00
	v_lshl_or_b32 v7, v7, 9, 0x7c00
	s_or_b32 vcc_lo, s0, vcc_lo
	v_add_co_ci_u32_e32 v11, vcc_lo, 0, v11, vcc_lo
	s_or_b32 vcc_lo, s2, s1
	v_add_co_ci_u32_e32 v9, vcc_lo, 0, v9, vcc_lo
	v_cmp_gt_i32_e32 vcc_lo, 31, v10
	v_cndmask_b32_e32 v11, 0x7c00, v11, vcc_lo
	v_cmp_gt_i32_e32 vcc_lo, 31, v12
	v_cndmask_b32_e32 v9, 0x7c00, v9, vcc_lo
	v_cmp_eq_u32_e32 vcc_lo, 0x40f, v10
	v_cndmask_b32_e32 v5, v11, v5, vcc_lo
	v_cmp_eq_u32_e32 vcc_lo, 0x40f, v12
	v_and_or_b32 v5, 0x8000, v6, v5
	v_cndmask_b32_e32 v7, v9, v7, vcc_lo
	v_add_co_u32 v3, vcc_lo, v3, s6
	v_add_co_ci_u32_e32 v4, vcc_lo, s3, v4, vcc_lo
	v_and_or_b32 v6, 0x8000, v8, v7
	v_and_b32_e32 v5, 0xffff, v5
	v_lshl_or_b32 v5, v6, 16, v5
	global_store_dword v[3:4], v5, off
	global_load_dword v7, v40, s[12:13] offset:1800
	ds_read2_b32 v[5:6], v2 offset0:194 offset1:224
	s_waitcnt lgkmcnt(0)
	v_lshrrev_b32_e32 v2, 16, v5
	s_waitcnt vmcnt(0)
	v_mul_f16_sdwa v8, v2, v7 dst_sel:DWORD dst_unused:UNUSED_PAD src0_sel:DWORD src1_sel:WORD_1
	v_mul_f16_sdwa v9, v5, v7 dst_sel:DWORD dst_unused:UNUSED_PAD src0_sel:DWORD src1_sel:WORD_1
	v_fmac_f16_e32 v8, v5, v7
	v_fma_f16 v2, v7, v2, -v9
	v_cvt_f32_f16_e32 v5, v8
	v_cvt_f32_f16_e32 v2, v2
	v_cvt_f64_f32_e32 v[7:8], v5
	v_cvt_f64_f32_e32 v[9:10], v2
	v_mul_f64 v[7:8], v[7:8], s[8:9]
	v_mul_f64 v[9:10], v[9:10], s[8:9]
	v_and_or_b32 v2, 0x1ff, v8, v7
	v_and_or_b32 v9, 0x1ff, v10, v9
	v_lshrrev_b32_e32 v5, 8, v8
	v_bfe_u32 v7, v8, 20, 11
	v_lshrrev_b32_e32 v11, 8, v10
	v_cmp_ne_u32_e32 vcc_lo, 0, v2
	v_bfe_u32 v12, v10, 20, 11
	v_lshrrev_b32_e32 v8, 16, v8
	v_sub_nc_u32_e32 v13, 0x3f1, v7
	v_add_nc_u32_e32 v7, 0xfffffc10, v7
	v_cndmask_b32_e64 v2, 0, 1, vcc_lo
	v_cmp_ne_u32_e32 vcc_lo, 0, v9
	v_and_or_b32 v2, 0xffe, v5, v2
	v_cndmask_b32_e64 v9, 0, 1, vcc_lo
	v_sub_nc_u32_e32 v5, 0x3f1, v12
	v_add_nc_u32_e32 v12, 0xfffffc10, v12
	v_and_or_b32 v9, 0xffe, v11, v9
	v_med3_i32 v11, v13, 0, 13
	v_or_b32_e32 v13, 0x1000, v2
	v_med3_i32 v5, v5, 0, 13
	v_or_b32_e32 v14, 0x1000, v9
	v_lshrrev_b32_e32 v15, v11, v13
	v_lshrrev_b32_e32 v16, v5, v14
	v_lshlrev_b32_e32 v11, v11, v15
	v_lshlrev_b32_e32 v5, v5, v16
	v_cmp_ne_u32_e32 vcc_lo, v11, v13
	v_lshl_or_b32 v13, v7, 12, v2
	v_cndmask_b32_e64 v11, 0, 1, vcc_lo
	v_cmp_ne_u32_e32 vcc_lo, v5, v14
	v_lshl_or_b32 v14, v12, 12, v9
	v_or_b32_e32 v11, v15, v11
	v_cndmask_b32_e64 v5, 0, 1, vcc_lo
	v_cmp_gt_i32_e32 vcc_lo, 1, v7
	v_or_b32_e32 v5, v16, v5
	v_cndmask_b32_e32 v11, v13, v11, vcc_lo
	v_cmp_gt_i32_e32 vcc_lo, 1, v12
	v_and_b32_e32 v13, 7, v11
	v_cndmask_b32_e32 v5, v14, v5, vcc_lo
	v_cmp_ne_u32_e32 vcc_lo, 0, v2
	v_lshrrev_b32_e32 v11, 2, v11
	v_cmp_eq_u32_e64 s0, 3, v13
	v_and_b32_e32 v14, 7, v5
	v_cndmask_b32_e64 v2, 0, 1, vcc_lo
	v_cmp_ne_u32_e32 vcc_lo, 0, v9
	v_lshrrev_b32_e32 v5, 2, v5
	v_cmp_lt_i32_e64 s1, 5, v14
	v_cmp_eq_u32_e64 s2, 3, v14
	v_cndmask_b32_e64 v9, 0, 1, vcc_lo
	v_cmp_lt_i32_e32 vcc_lo, 5, v13
	v_lshl_or_b32 v2, v2, 9, 0x7c00
	v_lshl_or_b32 v9, v9, 9, 0x7c00
	s_or_b32 vcc_lo, s0, vcc_lo
	v_add_co_ci_u32_e32 v11, vcc_lo, 0, v11, vcc_lo
	s_or_b32 vcc_lo, s2, s1
	v_add_co_ci_u32_e32 v5, vcc_lo, 0, v5, vcc_lo
	v_cmp_gt_i32_e32 vcc_lo, 31, v7
	v_cndmask_b32_e32 v11, 0x7c00, v11, vcc_lo
	v_cmp_gt_i32_e32 vcc_lo, 31, v12
	v_cndmask_b32_e32 v5, 0x7c00, v5, vcc_lo
	v_cmp_eq_u32_e32 vcc_lo, 0x40f, v7
	v_lshrrev_b32_e32 v7, 16, v10
	v_cndmask_b32_e32 v2, v11, v2, vcc_lo
	v_cmp_eq_u32_e32 vcc_lo, 0x40f, v12
	v_and_or_b32 v2, 0x8000, v8, v2
	v_cndmask_b32_e32 v5, v5, v9, vcc_lo
	v_and_or_b32 v5, 0x8000, v7, v5
	v_and_b32_e32 v7, 0xffff, v2
	v_add_co_u32 v2, vcc_lo, v3, s6
	v_add_co_ci_u32_e32 v3, vcc_lo, s3, v4, vcc_lo
	v_lshl_or_b32 v4, v5, 16, v7
	global_store_dword v[2:3], v4, off
	global_load_dword v2, v40, s[12:13] offset:1920
	v_lshrrev_b32_e32 v3, 16, v6
	s_waitcnt vmcnt(0)
	v_mul_f16_sdwa v4, v3, v2 dst_sel:DWORD dst_unused:UNUSED_PAD src0_sel:DWORD src1_sel:WORD_1
	v_mul_f16_sdwa v5, v6, v2 dst_sel:DWORD dst_unused:UNUSED_PAD src0_sel:DWORD src1_sel:WORD_1
	v_fmac_f16_e32 v4, v6, v2
	v_fma_f16 v2, v2, v3, -v5
	v_cvt_f32_f16_e32 v3, v4
	v_cvt_f32_f16_e32 v4, v2
	v_cvt_f64_f32_e32 v[2:3], v3
	v_cvt_f64_f32_e32 v[4:5], v4
	v_mul_f64 v[2:3], v[2:3], s[8:9]
	v_mul_f64 v[4:5], v[4:5], s[8:9]
	v_and_or_b32 v2, 0x1ff, v3, v2
	v_and_or_b32 v4, 0x1ff, v5, v4
	v_lshrrev_b32_e32 v6, 8, v3
	v_bfe_u32 v8, v3, 20, 11
	v_bfe_u32 v9, v5, 20, 11
	v_cmp_ne_u32_e32 vcc_lo, 0, v2
	v_lshrrev_b32_e32 v7, 8, v5
	v_lshrrev_b32_e32 v5, 16, v5
	v_sub_nc_u32_e32 v10, 0x3f1, v8
	v_sub_nc_u32_e32 v11, 0x3f1, v9
	v_cndmask_b32_e64 v2, 0, 1, vcc_lo
	v_cmp_ne_u32_e32 vcc_lo, 0, v4
	v_add_nc_u32_e32 v9, 0xfffffc10, v9
	v_and_or_b32 v12, 0xffe, v6, v2
	v_cndmask_b32_e64 v4, 0, 1, vcc_lo
	v_med3_i32 v2, v10, 0, 13
	v_med3_i32 v10, v11, 0, 13
	v_or_b32_e32 v11, 0x1000, v12
	v_and_or_b32 v4, 0xffe, v7, v4
	v_mad_u64_u32 v[6:7], null, s4, v39, 0
	v_lshrrev_b32_e32 v14, v2, v11
	v_or_b32_e32 v13, 0x1000, v4
	v_lshlrev_b32_e32 v16, v2, v14
	v_lshrrev_b32_e32 v15, v10, v13
	v_mov_b32_e32 v2, v7
	v_cmp_ne_u32_e32 vcc_lo, v16, v11
	v_lshlrev_b32_e32 v7, v10, v15
	v_add_nc_u32_e32 v10, 0xfffffc10, v8
	v_cndmask_b32_e64 v11, 0, 1, vcc_lo
	v_cmp_ne_u32_e32 vcc_lo, v7, v13
	v_mad_u64_u32 v[7:8], null, s5, v39, v[2:3]
	v_lshl_or_b32 v2, v10, 12, v12
	v_or_b32_e32 v8, v14, v11
	v_cndmask_b32_e64 v13, 0, 1, vcc_lo
	v_cmp_gt_i32_e32 vcc_lo, 1, v10
	v_lshl_or_b32 v11, v9, 12, v4
	v_lshrrev_b32_e32 v3, 16, v3
	v_or_b32_e32 v13, v15, v13
	v_cndmask_b32_e32 v2, v2, v8, vcc_lo
	v_cmp_gt_i32_e32 vcc_lo, 1, v9
	v_cndmask_b32_e32 v8, v11, v13, vcc_lo
	v_cmp_ne_u32_e32 vcc_lo, 0, v12
	v_and_b32_e32 v12, 7, v2
	v_lshrrev_b32_e32 v2, 2, v2
	v_and_b32_e32 v13, 7, v8
	v_cndmask_b32_e64 v11, 0, 1, vcc_lo
	v_cmp_ne_u32_e32 vcc_lo, 0, v4
	v_cmp_eq_u32_e64 s0, 3, v12
	v_lshrrev_b32_e32 v8, 2, v8
	v_cmp_lt_i32_e64 s1, 5, v13
	v_cmp_eq_u32_e64 s2, 3, v13
	v_cndmask_b32_e64 v4, 0, 1, vcc_lo
	v_cmp_lt_i32_e32 vcc_lo, 5, v12
	v_lshl_or_b32 v11, v11, 9, 0x7c00
	v_lshl_or_b32 v4, v4, 9, 0x7c00
	s_or_b32 vcc_lo, s0, vcc_lo
	v_add_co_ci_u32_e32 v2, vcc_lo, 0, v2, vcc_lo
	s_or_b32 vcc_lo, s2, s1
	v_add_co_ci_u32_e32 v8, vcc_lo, 0, v8, vcc_lo
	v_cmp_gt_i32_e32 vcc_lo, 31, v10
	v_cndmask_b32_e32 v2, 0x7c00, v2, vcc_lo
	v_cmp_gt_i32_e32 vcc_lo, 31, v9
	v_cndmask_b32_e32 v8, 0x7c00, v8, vcc_lo
	v_cmp_eq_u32_e32 vcc_lo, 0x40f, v10
	v_cndmask_b32_e32 v2, v2, v11, vcc_lo
	v_cmp_eq_u32_e32 vcc_lo, 0x40f, v9
	v_and_or_b32 v2, 0x8000, v3, v2
	v_cndmask_b32_e32 v4, v8, v4, vcc_lo
	v_and_or_b32 v4, 0x8000, v5, v4
	v_and_b32_e32 v5, 0xffff, v2
	v_lshlrev_b64 v[2:3], 2, v[6:7]
	v_lshl_or_b32 v4, v4, 16, v5
	v_add_co_u32 v0, vcc_lo, v0, v2
	v_add_co_ci_u32_e32 v1, vcc_lo, v1, v3, vcc_lo
	global_store_dword v[0:1], v4, off
.LBB0_23:
	s_endpgm
	.section	.rodata,"a",@progbits
	.p2align	6, 0x0
	.amdhsa_kernel bluestein_single_back_len510_dim1_half_op_CI_CI
		.amdhsa_group_segment_fixed_size 14280
		.amdhsa_private_segment_fixed_size 0
		.amdhsa_kernarg_size 104
		.amdhsa_user_sgpr_count 6
		.amdhsa_user_sgpr_private_segment_buffer 1
		.amdhsa_user_sgpr_dispatch_ptr 0
		.amdhsa_user_sgpr_queue_ptr 0
		.amdhsa_user_sgpr_kernarg_segment_ptr 1
		.amdhsa_user_sgpr_dispatch_id 0
		.amdhsa_user_sgpr_flat_scratch_init 0
		.amdhsa_user_sgpr_private_segment_size 0
		.amdhsa_wavefront_size32 1
		.amdhsa_uses_dynamic_stack 0
		.amdhsa_system_sgpr_private_segment_wavefront_offset 0
		.amdhsa_system_sgpr_workgroup_id_x 1
		.amdhsa_system_sgpr_workgroup_id_y 0
		.amdhsa_system_sgpr_workgroup_id_z 0
		.amdhsa_system_sgpr_workgroup_info 0
		.amdhsa_system_vgpr_workitem_id 0
		.amdhsa_next_free_vgpr 239
		.amdhsa_next_free_sgpr 16
		.amdhsa_reserve_vcc 1
		.amdhsa_reserve_flat_scratch 0
		.amdhsa_float_round_mode_32 0
		.amdhsa_float_round_mode_16_64 0
		.amdhsa_float_denorm_mode_32 3
		.amdhsa_float_denorm_mode_16_64 3
		.amdhsa_dx10_clamp 1
		.amdhsa_ieee_mode 1
		.amdhsa_fp16_overflow 0
		.amdhsa_workgroup_processor_mode 1
		.amdhsa_memory_ordered 1
		.amdhsa_forward_progress 0
		.amdhsa_shared_vgpr_count 0
		.amdhsa_exception_fp_ieee_invalid_op 0
		.amdhsa_exception_fp_denorm_src 0
		.amdhsa_exception_fp_ieee_div_zero 0
		.amdhsa_exception_fp_ieee_overflow 0
		.amdhsa_exception_fp_ieee_underflow 0
		.amdhsa_exception_fp_ieee_inexact 0
		.amdhsa_exception_int_div_zero 0
	.end_amdhsa_kernel
	.text
.Lfunc_end0:
	.size	bluestein_single_back_len510_dim1_half_op_CI_CI, .Lfunc_end0-bluestein_single_back_len510_dim1_half_op_CI_CI
                                        ; -- End function
	.section	.AMDGPU.csdata,"",@progbits
; Kernel info:
; codeLenInByte = 31144
; NumSgprs: 18
; NumVgprs: 239
; ScratchSize: 0
; MemoryBound: 0
; FloatMode: 240
; IeeeMode: 1
; LDSByteSize: 14280 bytes/workgroup (compile time only)
; SGPRBlocks: 2
; VGPRBlocks: 29
; NumSGPRsForWavesPerEU: 18
; NumVGPRsForWavesPerEU: 239
; Occupancy: 4
; WaveLimiterHint : 1
; COMPUTE_PGM_RSRC2:SCRATCH_EN: 0
; COMPUTE_PGM_RSRC2:USER_SGPR: 6
; COMPUTE_PGM_RSRC2:TRAP_HANDLER: 0
; COMPUTE_PGM_RSRC2:TGID_X_EN: 1
; COMPUTE_PGM_RSRC2:TGID_Y_EN: 0
; COMPUTE_PGM_RSRC2:TGID_Z_EN: 0
; COMPUTE_PGM_RSRC2:TIDIG_COMP_CNT: 0
	.text
	.p2alignl 6, 3214868480
	.fill 48, 4, 3214868480
	.type	__hip_cuid_1bca9fc76866f005,@object ; @__hip_cuid_1bca9fc76866f005
	.section	.bss,"aw",@nobits
	.globl	__hip_cuid_1bca9fc76866f005
__hip_cuid_1bca9fc76866f005:
	.byte	0                               ; 0x0
	.size	__hip_cuid_1bca9fc76866f005, 1

	.ident	"AMD clang version 19.0.0git (https://github.com/RadeonOpenCompute/llvm-project roc-6.4.0 25133 c7fe45cf4b819c5991fe208aaa96edf142730f1d)"
	.section	".note.GNU-stack","",@progbits
	.addrsig
	.addrsig_sym __hip_cuid_1bca9fc76866f005
	.amdgpu_metadata
---
amdhsa.kernels:
  - .args:
      - .actual_access:  read_only
        .address_space:  global
        .offset:         0
        .size:           8
        .value_kind:     global_buffer
      - .actual_access:  read_only
        .address_space:  global
        .offset:         8
        .size:           8
        .value_kind:     global_buffer
      - .actual_access:  read_only
        .address_space:  global
        .offset:         16
        .size:           8
        .value_kind:     global_buffer
      - .actual_access:  read_only
        .address_space:  global
        .offset:         24
        .size:           8
        .value_kind:     global_buffer
      - .actual_access:  read_only
        .address_space:  global
        .offset:         32
        .size:           8
        .value_kind:     global_buffer
      - .offset:         40
        .size:           8
        .value_kind:     by_value
      - .address_space:  global
        .offset:         48
        .size:           8
        .value_kind:     global_buffer
      - .address_space:  global
        .offset:         56
        .size:           8
        .value_kind:     global_buffer
      - .address_space:  global
        .offset:         64
        .size:           8
        .value_kind:     global_buffer
      - .address_space:  global
        .offset:         72
        .size:           8
        .value_kind:     global_buffer
      - .offset:         80
        .size:           4
        .value_kind:     by_value
      - .address_space:  global
        .offset:         88
        .size:           8
        .value_kind:     global_buffer
      - .address_space:  global
        .offset:         96
        .size:           8
        .value_kind:     global_buffer
    .group_segment_fixed_size: 14280
    .kernarg_segment_align: 8
    .kernarg_segment_size: 104
    .language:       OpenCL C
    .language_version:
      - 2
      - 0
    .max_flat_workgroup_size: 238
    .name:           bluestein_single_back_len510_dim1_half_op_CI_CI
    .private_segment_fixed_size: 0
    .sgpr_count:     18
    .sgpr_spill_count: 0
    .symbol:         bluestein_single_back_len510_dim1_half_op_CI_CI.kd
    .uniform_work_group_size: 1
    .uses_dynamic_stack: false
    .vgpr_count:     239
    .vgpr_spill_count: 0
    .wavefront_size: 32
    .workgroup_processor_mode: 1
amdhsa.target:   amdgcn-amd-amdhsa--gfx1030
amdhsa.version:
  - 1
  - 2
...

	.end_amdgpu_metadata
